;; amdgpu-corpus repo=ROCm/rocFFT kind=compiled arch=gfx906 opt=O3
	.text
	.amdgcn_target "amdgcn-amd-amdhsa--gfx906"
	.amdhsa_code_object_version 6
	.protected	fft_rtc_fwd_len1632_factors_17_2_2_3_8_wgs_102_tpt_102_halfLds_dp_op_CI_CI_sbrr_dirReg ; -- Begin function fft_rtc_fwd_len1632_factors_17_2_2_3_8_wgs_102_tpt_102_halfLds_dp_op_CI_CI_sbrr_dirReg
	.globl	fft_rtc_fwd_len1632_factors_17_2_2_3_8_wgs_102_tpt_102_halfLds_dp_op_CI_CI_sbrr_dirReg
	.p2align	8
	.type	fft_rtc_fwd_len1632_factors_17_2_2_3_8_wgs_102_tpt_102_halfLds_dp_op_CI_CI_sbrr_dirReg,@function
fft_rtc_fwd_len1632_factors_17_2_2_3_8_wgs_102_tpt_102_halfLds_dp_op_CI_CI_sbrr_dirReg: ; @fft_rtc_fwd_len1632_factors_17_2_2_3_8_wgs_102_tpt_102_halfLds_dp_op_CI_CI_sbrr_dirReg
; %bb.0:
	s_load_dwordx4 s[16:19], s[4:5], 0x18
	s_load_dwordx4 s[12:15], s[4:5], 0x0
	;; [unrolled: 1-line block ×3, first 2 shown]
	v_mul_u32_u24_e32 v1, 0x283, v0
	v_add_u32_sdwa v6, s6, v1 dst_sel:DWORD dst_unused:UNUSED_PAD src0_sel:DWORD src1_sel:WORD_1
	s_waitcnt lgkmcnt(0)
	s_load_dwordx2 s[22:23], s[16:17], 0x0
	s_load_dwordx2 s[20:21], s[18:19], 0x0
	v_cmp_lt_u64_e64 s[0:1], s[14:15], 2
	v_mov_b32_e32 v1, 0
	v_mov_b32_e32 v4, 0
	;; [unrolled: 1-line block ×3, first 2 shown]
	s_and_b64 vcc, exec, s[0:1]
	v_mov_b32_e32 v5, 0
	s_cbranch_vccnz .LBB0_8
; %bb.1:
	s_load_dwordx2 s[0:1], s[4:5], 0x10
	s_add_u32 s2, s18, 8
	s_addc_u32 s3, s19, 0
	s_add_u32 s6, s16, 8
	v_mov_b32_e32 v4, 0
	s_addc_u32 s7, s17, 0
	v_mov_b32_e32 v5, 0
	s_waitcnt lgkmcnt(0)
	s_add_u32 s24, s0, 8
	v_mov_b32_e32 v109, v5
	s_addc_u32 s25, s1, 0
	s_mov_b64 s[26:27], 1
	v_mov_b32_e32 v108, v4
.LBB0_2:                                ; =>This Inner Loop Header: Depth=1
	s_load_dwordx2 s[28:29], s[24:25], 0x0
                                        ; implicit-def: $vgpr110_vgpr111
	s_waitcnt lgkmcnt(0)
	v_or_b32_e32 v2, s29, v7
	v_cmp_ne_u64_e32 vcc, 0, v[1:2]
	s_and_saveexec_b64 s[0:1], vcc
	s_xor_b64 s[30:31], exec, s[0:1]
	s_cbranch_execz .LBB0_4
; %bb.3:                                ;   in Loop: Header=BB0_2 Depth=1
	v_cvt_f32_u32_e32 v2, s28
	v_cvt_f32_u32_e32 v3, s29
	s_sub_u32 s0, 0, s28
	s_subb_u32 s1, 0, s29
	v_mac_f32_e32 v2, 0x4f800000, v3
	v_rcp_f32_e32 v2, v2
	v_mul_f32_e32 v2, 0x5f7ffffc, v2
	v_mul_f32_e32 v3, 0x2f800000, v2
	v_trunc_f32_e32 v3, v3
	v_mac_f32_e32 v2, 0xcf800000, v3
	v_cvt_u32_f32_e32 v3, v3
	v_cvt_u32_f32_e32 v2, v2
	v_mul_lo_u32 v8, s0, v3
	v_mul_hi_u32 v9, s0, v2
	v_mul_lo_u32 v11, s1, v2
	v_mul_lo_u32 v10, s0, v2
	v_add_u32_e32 v8, v9, v8
	v_add_u32_e32 v8, v8, v11
	v_mul_hi_u32 v9, v2, v10
	v_mul_lo_u32 v11, v2, v8
	v_mul_hi_u32 v13, v2, v8
	v_mul_hi_u32 v12, v3, v10
	v_mul_lo_u32 v10, v3, v10
	v_mul_hi_u32 v14, v3, v8
	v_add_co_u32_e32 v9, vcc, v9, v11
	v_addc_co_u32_e32 v11, vcc, 0, v13, vcc
	v_mul_lo_u32 v8, v3, v8
	v_add_co_u32_e32 v9, vcc, v9, v10
	v_addc_co_u32_e32 v9, vcc, v11, v12, vcc
	v_addc_co_u32_e32 v10, vcc, 0, v14, vcc
	v_add_co_u32_e32 v8, vcc, v9, v8
	v_addc_co_u32_e32 v9, vcc, 0, v10, vcc
	v_add_co_u32_e32 v2, vcc, v2, v8
	v_addc_co_u32_e32 v3, vcc, v3, v9, vcc
	v_mul_lo_u32 v8, s0, v3
	v_mul_hi_u32 v9, s0, v2
	v_mul_lo_u32 v10, s1, v2
	v_mul_lo_u32 v11, s0, v2
	v_add_u32_e32 v8, v9, v8
	v_add_u32_e32 v8, v8, v10
	v_mul_lo_u32 v12, v2, v8
	v_mul_hi_u32 v13, v2, v11
	v_mul_hi_u32 v14, v2, v8
	;; [unrolled: 1-line block ×3, first 2 shown]
	v_mul_lo_u32 v11, v3, v11
	v_mul_hi_u32 v9, v3, v8
	v_add_co_u32_e32 v12, vcc, v13, v12
	v_addc_co_u32_e32 v13, vcc, 0, v14, vcc
	v_mul_lo_u32 v8, v3, v8
	v_add_co_u32_e32 v11, vcc, v12, v11
	v_addc_co_u32_e32 v10, vcc, v13, v10, vcc
	v_addc_co_u32_e32 v9, vcc, 0, v9, vcc
	v_add_co_u32_e32 v8, vcc, v10, v8
	v_addc_co_u32_e32 v9, vcc, 0, v9, vcc
	v_add_co_u32_e32 v8, vcc, v2, v8
	v_addc_co_u32_e32 v9, vcc, v3, v9, vcc
	v_mad_u64_u32 v[2:3], s[0:1], v6, v9, 0
	v_mul_hi_u32 v10, v6, v8
	v_add_co_u32_e32 v10, vcc, v10, v2
	v_addc_co_u32_e32 v11, vcc, 0, v3, vcc
	v_mad_u64_u32 v[2:3], s[0:1], v7, v8, 0
	v_mad_u64_u32 v[8:9], s[0:1], v7, v9, 0
	v_add_co_u32_e32 v2, vcc, v10, v2
	v_addc_co_u32_e32 v2, vcc, v11, v3, vcc
	v_addc_co_u32_e32 v3, vcc, 0, v9, vcc
	v_add_co_u32_e32 v8, vcc, v2, v8
	v_addc_co_u32_e32 v9, vcc, 0, v3, vcc
	v_mul_lo_u32 v10, s29, v8
	v_mul_lo_u32 v11, s28, v9
	v_mad_u64_u32 v[2:3], s[0:1], s28, v8, 0
	v_add3_u32 v3, v3, v11, v10
	v_sub_u32_e32 v10, v7, v3
	v_mov_b32_e32 v11, s29
	v_sub_co_u32_e32 v2, vcc, v6, v2
	v_subb_co_u32_e64 v10, s[0:1], v10, v11, vcc
	v_subrev_co_u32_e64 v11, s[0:1], s28, v2
	v_subbrev_co_u32_e64 v10, s[0:1], 0, v10, s[0:1]
	v_cmp_le_u32_e64 s[0:1], s29, v10
	v_cndmask_b32_e64 v12, 0, -1, s[0:1]
	v_cmp_le_u32_e64 s[0:1], s28, v11
	v_cndmask_b32_e64 v11, 0, -1, s[0:1]
	v_cmp_eq_u32_e64 s[0:1], s29, v10
	v_cndmask_b32_e64 v10, v12, v11, s[0:1]
	v_add_co_u32_e64 v11, s[0:1], 2, v8
	v_addc_co_u32_e64 v12, s[0:1], 0, v9, s[0:1]
	v_add_co_u32_e64 v13, s[0:1], 1, v8
	v_addc_co_u32_e64 v14, s[0:1], 0, v9, s[0:1]
	v_subb_co_u32_e32 v3, vcc, v7, v3, vcc
	v_cmp_ne_u32_e64 s[0:1], 0, v10
	v_cmp_le_u32_e32 vcc, s29, v3
	v_cndmask_b32_e64 v10, v14, v12, s[0:1]
	v_cndmask_b32_e64 v12, 0, -1, vcc
	v_cmp_le_u32_e32 vcc, s28, v2
	v_cndmask_b32_e64 v2, 0, -1, vcc
	v_cmp_eq_u32_e32 vcc, s29, v3
	v_cndmask_b32_e32 v2, v12, v2, vcc
	v_cmp_ne_u32_e32 vcc, 0, v2
	v_cndmask_b32_e64 v2, v13, v11, s[0:1]
	v_cndmask_b32_e32 v111, v9, v10, vcc
	v_cndmask_b32_e32 v110, v8, v2, vcc
.LBB0_4:                                ;   in Loop: Header=BB0_2 Depth=1
	s_andn2_saveexec_b64 s[0:1], s[30:31]
	s_cbranch_execz .LBB0_6
; %bb.5:                                ;   in Loop: Header=BB0_2 Depth=1
	v_cvt_f32_u32_e32 v2, s28
	s_sub_i32 s30, 0, s28
	v_mov_b32_e32 v111, v1
	v_rcp_iflag_f32_e32 v2, v2
	v_mul_f32_e32 v2, 0x4f7ffffe, v2
	v_cvt_u32_f32_e32 v2, v2
	v_mul_lo_u32 v3, s30, v2
	v_mul_hi_u32 v3, v2, v3
	v_add_u32_e32 v2, v2, v3
	v_mul_hi_u32 v2, v6, v2
	v_mul_lo_u32 v3, v2, s28
	v_add_u32_e32 v8, 1, v2
	v_sub_u32_e32 v3, v6, v3
	v_subrev_u32_e32 v9, s28, v3
	v_cmp_le_u32_e32 vcc, s28, v3
	v_cndmask_b32_e32 v3, v3, v9, vcc
	v_cndmask_b32_e32 v2, v2, v8, vcc
	v_add_u32_e32 v8, 1, v2
	v_cmp_le_u32_e32 vcc, s28, v3
	v_cndmask_b32_e32 v110, v2, v8, vcc
.LBB0_6:                                ;   in Loop: Header=BB0_2 Depth=1
	s_or_b64 exec, exec, s[0:1]
	v_mul_lo_u32 v8, v111, s28
	v_mul_lo_u32 v9, v110, s29
	v_mad_u64_u32 v[2:3], s[0:1], v110, s28, 0
	s_load_dwordx2 s[0:1], s[6:7], 0x0
	s_load_dwordx2 s[28:29], s[2:3], 0x0
	v_add3_u32 v3, v3, v9, v8
	v_sub_co_u32_e32 v2, vcc, v6, v2
	v_subb_co_u32_e32 v3, vcc, v7, v3, vcc
	s_waitcnt lgkmcnt(0)
	v_mul_lo_u32 v6, s0, v3
	v_mul_lo_u32 v7, s1, v2
	v_mad_u64_u32 v[4:5], s[0:1], s0, v2, v[4:5]
	v_mul_lo_u32 v3, s28, v3
	v_mul_lo_u32 v8, s29, v2
	v_mad_u64_u32 v[108:109], s[0:1], s28, v2, v[108:109]
	s_add_u32 s26, s26, 1
	s_addc_u32 s27, s27, 0
	s_add_u32 s2, s2, 8
	v_add3_u32 v109, v8, v109, v3
	s_addc_u32 s3, s3, 0
	v_mov_b32_e32 v2, s14
	s_add_u32 s6, s6, 8
	v_mov_b32_e32 v3, s15
	s_addc_u32 s7, s7, 0
	v_cmp_ge_u64_e32 vcc, s[26:27], v[2:3]
	s_add_u32 s24, s24, 8
	v_add3_u32 v5, v7, v5, v6
	s_addc_u32 s25, s25, 0
	s_cbranch_vccnz .LBB0_9
; %bb.7:                                ;   in Loop: Header=BB0_2 Depth=1
	v_mov_b32_e32 v6, v110
	v_mov_b32_e32 v7, v111
	s_branch .LBB0_2
.LBB0_8:
	v_mov_b32_e32 v109, v5
	v_mov_b32_e32 v111, v7
	;; [unrolled: 1-line block ×4, first 2 shown]
.LBB0_9:
	s_load_dwordx2 s[0:1], s[4:5], 0x28
	s_mov_b32 s4, 0x2828283
	v_mul_hi_u32 v1, v0, s4
	s_lshl_b64 s[2:3], s[14:15], 3
	s_add_u32 s4, s18, s2
	s_waitcnt lgkmcnt(0)
	v_cmp_gt_u64_e32 vcc, s[0:1], v[110:111]
	v_mul_u32_u24_e32 v1, 0x66, v1
	v_sub_u32_e32 v130, v0, v1
	s_movk_i32 s0, 0x60
	v_cmp_gt_u32_e64 s[0:1], s0, v130
	s_addc_u32 s5, s19, s3
	s_and_b64 s[14:15], vcc, s[0:1]
                                        ; implicit-def: $vgpr62_vgpr63
                                        ; implicit-def: $vgpr58_vgpr59
                                        ; implicit-def: $vgpr54_vgpr55
                                        ; implicit-def: $vgpr46_vgpr47
                                        ; implicit-def: $vgpr30_vgpr31
                                        ; implicit-def: $vgpr26_vgpr27
                                        ; implicit-def: $vgpr18_vgpr19
                                        ; implicit-def: $vgpr14_vgpr15
                                        ; implicit-def: $vgpr2_vgpr3
                                        ; implicit-def: $vgpr10_vgpr11
                                        ; implicit-def: $vgpr22_vgpr23
                                        ; implicit-def: $vgpr34_vgpr35
                                        ; implicit-def: $vgpr38_vgpr39
                                        ; implicit-def: $vgpr42_vgpr43
                                        ; implicit-def: $vgpr50_vgpr51
                                        ; implicit-def: $vgpr66_vgpr67
                                        ; implicit-def: $vgpr6_vgpr7
	s_and_saveexec_b64 s[6:7], s[14:15]
	s_cbranch_execz .LBB0_11
; %bb.10:
	s_add_u32 s2, s16, s2
	s_addc_u32 s3, s17, s3
	s_load_dwordx2 s[2:3], s[2:3], 0x0
	v_mad_u64_u32 v[0:1], s[14:15], s22, v130, 0
	v_add_u32_e32 v10, 0x120, v130
	s_waitcnt lgkmcnt(0)
	v_mul_lo_u32 v8, s3, v110
	v_mul_lo_u32 v9, s2, v111
	v_mad_u64_u32 v[2:3], s[2:3], s2, v110, 0
	v_mad_u64_u32 v[6:7], s[2:3], s23, v130, v[1:2]
	v_add3_u32 v3, v3, v9, v8
	v_lshlrev_b64 v[2:3], 4, v[2:3]
	v_mov_b32_e32 v1, v6
	v_mov_b32_e32 v6, s9
	v_add_co_u32_e64 v7, s[2:3], s8, v2
	v_add_u32_e32 v8, 0x60, v130
	v_addc_co_u32_e64 v6, s[2:3], v6, v3, s[2:3]
	v_lshlrev_b64 v[2:3], 4, v[4:5]
	v_mad_u64_u32 v[4:5], s[2:3], s22, v8, 0
	v_add_co_u32_e64 v12, s[2:3], v7, v2
	v_mov_b32_e32 v2, v5
	v_addc_co_u32_e64 v13, s[2:3], v6, v3, s[2:3]
	v_mad_u64_u32 v[2:3], s[2:3], s23, v8, v[2:3]
	v_add_u32_e32 v8, 0xc0, v130
	v_mad_u64_u32 v[6:7], s[2:3], s22, v8, 0
	v_lshlrev_b64 v[0:1], 4, v[0:1]
	v_mov_b32_e32 v5, v2
	v_add_co_u32_e64 v0, s[2:3], v12, v0
	v_lshlrev_b64 v[2:3], 4, v[4:5]
	v_mov_b32_e32 v4, v7
	v_addc_co_u32_e64 v1, s[2:3], v13, v1, s[2:3]
	v_mad_u64_u32 v[4:5], s[2:3], s23, v8, v[4:5]
	v_mad_u64_u32 v[8:9], s[2:3], s22, v10, 0
	v_mov_b32_e32 v7, v4
	v_add_co_u32_e64 v2, s[2:3], v12, v2
	v_lshlrev_b64 v[4:5], 4, v[6:7]
	v_mov_b32_e32 v6, v9
	v_addc_co_u32_e64 v3, s[2:3], v13, v3, s[2:3]
	v_mad_u64_u32 v[6:7], s[2:3], s23, v10, v[6:7]
	v_or_b32_e32 v7, 0x180, v130
	v_mad_u64_u32 v[10:11], s[2:3], s22, v7, 0
	v_add_co_u32_e64 v68, s[2:3], v12, v4
	v_mov_b32_e32 v9, v6
	v_mov_b32_e32 v6, v11
	v_addc_co_u32_e64 v69, s[2:3], v13, v5, s[2:3]
	v_lshlrev_b64 v[4:5], 4, v[8:9]
	v_mad_u64_u32 v[6:7], s[2:3], s23, v7, v[6:7]
	v_add_u32_e32 v9, 0x1e0, v130
	v_mad_u64_u32 v[7:8], s[2:3], s22, v9, 0
	v_add_co_u32_e64 v70, s[2:3], v12, v4
	v_mov_b32_e32 v11, v6
	v_mov_b32_e32 v6, v8
	v_addc_co_u32_e64 v71, s[2:3], v13, v5, s[2:3]
	v_lshlrev_b64 v[4:5], 4, v[10:11]
	v_mad_u64_u32 v[8:9], s[2:3], s23, v9, v[6:7]
	v_add_u32_e32 v11, 0x240, v130
	v_mad_u64_u32 v[9:10], s[2:3], s22, v11, 0
	v_add_co_u32_e64 v72, s[2:3], v12, v4
	v_mov_b32_e32 v6, v10
	v_addc_co_u32_e64 v73, s[2:3], v13, v5, s[2:3]
	v_lshlrev_b64 v[4:5], 4, v[7:8]
	v_mad_u64_u32 v[6:7], s[2:3], s23, v11, v[6:7]
	v_add_u32_e32 v11, 0x2a0, v130
	v_mad_u64_u32 v[7:8], s[2:3], s22, v11, 0
	v_add_co_u32_e64 v74, s[2:3], v12, v4
	v_mov_b32_e32 v10, v6
	v_mov_b32_e32 v6, v8
	v_addc_co_u32_e64 v75, s[2:3], v13, v5, s[2:3]
	v_lshlrev_b64 v[4:5], 4, v[9:10]
	v_mad_u64_u32 v[8:9], s[2:3], s23, v11, v[6:7]
	v_or_b32_e32 v11, 0x300, v130
	v_mad_u64_u32 v[9:10], s[2:3], s22, v11, 0
	v_add_co_u32_e64 v76, s[2:3], v12, v4
	v_mov_b32_e32 v6, v10
	v_addc_co_u32_e64 v77, s[2:3], v13, v5, s[2:3]
	v_lshlrev_b64 v[4:5], 4, v[7:8]
	v_mad_u64_u32 v[6:7], s[2:3], s23, v11, v[6:7]
	v_add_u32_e32 v11, 0x360, v130
	v_mad_u64_u32 v[7:8], s[2:3], s22, v11, 0
	v_add_co_u32_e64 v78, s[2:3], v12, v4
	v_mov_b32_e32 v10, v6
	v_mov_b32_e32 v6, v8
	v_addc_co_u32_e64 v79, s[2:3], v13, v5, s[2:3]
	v_lshlrev_b64 v[4:5], 4, v[9:10]
	v_mad_u64_u32 v[8:9], s[2:3], s23, v11, v[6:7]
	v_add_u32_e32 v11, 0x3c0, v130
	v_mad_u64_u32 v[9:10], s[2:3], s22, v11, 0
	v_add_co_u32_e64 v80, s[2:3], v12, v4
	v_mov_b32_e32 v6, v10
	v_addc_co_u32_e64 v81, s[2:3], v13, v5, s[2:3]
	v_lshlrev_b64 v[4:5], 4, v[7:8]
	v_mad_u64_u32 v[6:7], s[2:3], s23, v11, v[6:7]
	v_add_u32_e32 v11, 0x420, v130
	v_mad_u64_u32 v[7:8], s[2:3], s22, v11, 0
	v_add_co_u32_e64 v82, s[2:3], v12, v4
	v_mov_b32_e32 v10, v6
	v_mov_b32_e32 v6, v8
	v_addc_co_u32_e64 v83, s[2:3], v13, v5, s[2:3]
	v_lshlrev_b64 v[4:5], 4, v[9:10]
	v_mad_u64_u32 v[8:9], s[2:3], s23, v11, v[6:7]
	v_or_b32_e32 v11, 0x480, v130
	v_mad_u64_u32 v[9:10], s[2:3], s22, v11, 0
	v_add_co_u32_e64 v84, s[2:3], v12, v4
	;; [unrolled: 30-line block ×3, first 2 shown]
	v_mov_b32_e32 v6, v10
	v_addc_co_u32_e64 v93, s[2:3], v13, v5, s[2:3]
	v_lshlrev_b64 v[4:5], 4, v[7:8]
	v_mad_u64_u32 v[6:7], s[2:3], s23, v11, v[6:7]
	v_add_co_u32_e64 v94, s[2:3], v12, v4
	v_mov_b32_e32 v10, v6
	v_addc_co_u32_e64 v95, s[2:3], v13, v5, s[2:3]
	global_load_dwordx4 v[4:7], v[0:1], off
	global_load_dwordx4 v[60:63], v[2:3], off
	v_lshlrev_b64 v[0:1], 4, v[9:10]
	v_add_co_u32_e64 v96, s[2:3], v12, v0
	v_addc_co_u32_e64 v97, s[2:3], v13, v1, s[2:3]
	global_load_dwordx4 v[64:67], v[68:69], off
	global_load_dwordx4 v[56:59], v[70:71], off
	;; [unrolled: 1-line block ×15, first 2 shown]
.LBB0_11:
	s_or_b64 exec, exec, s[6:7]
	s_waitcnt vmcnt(0)
	v_add_f64 v[68:69], v[60:61], v[0:1]
	s_mov_b32 s2, 0x370991
	s_mov_b32 s3, 0x3fedd6d0
	v_add_f64 v[70:71], v[62:63], -v[2:3]
	v_add_f64 v[72:73], v[8:9], v[64:65]
	s_mov_b32 s22, 0x5d8e7cdc
	s_mov_b32 s6, 0x75d4884
	;; [unrolled: 1-line block ×3, first 2 shown]
	v_mul_f64 v[74:75], v[68:69], s[2:3]
	s_mov_b32 s7, 0x3fe7a5f6
	v_add_f64 v[76:77], v[66:67], -v[10:11]
	v_add_f64 v[78:79], v[56:57], v[12:13]
	v_mul_f64 v[80:81], v[72:73], s[6:7]
	s_mov_b32 s26, 0x2a9d6da3
	s_mov_b32 s8, 0x2b2883cd
	;; [unrolled: 1-line block ×3, first 2 shown]
	v_fma_f64 v[88:89], v[70:71], s[22:23], v[74:75]
	s_mov_b32 s9, 0x3fdc86fa
	v_add_f64 v[82:83], v[58:59], -v[14:15]
	v_add_f64 v[84:85], v[52:53], v[20:21]
	v_mul_f64 v[86:87], v[78:79], s[8:9]
	v_fma_f64 v[94:95], v[76:77], s[26:27], v[80:81]
	s_mov_b32 s30, 0x7c9e640b
	s_mov_b32 s14, 0x3259b75e
	v_add_f64 v[96:97], v[88:89], v[4:5]
	s_mov_b32 s31, 0xbfeca52d
	s_mov_b32 s15, 0x3fb79ee6
	v_add_f64 v[88:89], v[54:55], -v[22:23]
	v_add_f64 v[90:91], v[16:17], v[48:49]
	v_mul_f64 v[92:93], v[84:85], s[14:15]
	v_fma_f64 v[100:101], v[82:83], s[30:31], v[86:87]
	s_mov_b32 s34, 0xeb564b22
	v_add_f64 v[96:97], v[94:95], v[96:97]
	s_mov_b32 s16, 0xc61f0d01
	s_mov_b32 s35, 0xbfefdd0d
	;; [unrolled: 1-line block ×3, first 2 shown]
	v_add_f64 v[94:95], v[44:45], v[24:25]
	v_add_f64 v[104:105], v[50:51], -v[18:19]
	v_mul_f64 v[98:99], v[90:91], s[16:17]
	v_fma_f64 v[106:107], v[88:89], s[34:35], v[92:93]
	v_add_f64 v[112:113], v[100:101], v[96:97]
	s_mov_b32 s18, 0x6ed5f1bb
	s_mov_b32 s36, 0x923c349f
	;; [unrolled: 1-line block ×4, first 2 shown]
	v_add_f64 v[102:103], v[46:47], -v[26:27]
	v_mul_f64 v[96:97], v[94:95], s[18:19]
	v_add_f64 v[100:101], v[32:33], v[40:41]
	v_add_f64 v[106:107], v[106:107], v[112:113]
	v_fma_f64 v[112:113], v[104:105], s[36:37], v[98:99]
	s_mov_b32 s38, 0x6c9a05f6
	s_mov_b32 s24, 0x910ea3b9
	;; [unrolled: 1-line block ×4, first 2 shown]
	v_fma_f64 v[118:119], v[102:103], s[38:39], v[96:97]
	v_add_f64 v[116:117], v[42:43], -v[34:35]
	v_mul_f64 v[114:115], v[100:101], s[24:25]
	v_add_f64 v[112:113], v[112:113], v[106:107]
	v_add_f64 v[106:107], v[28:29], v[36:37]
	s_mov_b32 s42, 0x4363dd80
	s_mov_b32 s28, 0x7faef3
	;; [unrolled: 1-line block ×4, first 2 shown]
	v_add_f64 v[120:121], v[38:39], -v[30:31]
	v_fma_f64 v[122:123], v[116:117], s[42:43], v[114:115]
	v_add_f64 v[112:113], v[118:119], v[112:113]
	v_mul_f64 v[118:119], v[106:107], s[28:29]
	s_mov_b32 s40, 0xacd6c6b4
	s_mov_b32 s41, 0xbfc7851a
	v_add_f64 v[112:113], v[122:123], v[112:113]
	v_fma_f64 v[122:123], v[120:121], s[40:41], v[118:119]
	v_add_f64 v[112:113], v[122:123], v[112:113]
	s_and_saveexec_b64 s[44:45], s[0:1]
	s_cbranch_execz .LBB0_13
; %bb.12:
	v_mul_f64 v[122:123], v[70:71], s[40:41]
	v_mul_f64 v[124:125], v[70:71], s[42:43]
	s_mov_b32 s47, 0x3fd71e95
	s_mov_b32 s46, s22
	s_mov_b32 s49, 0x3feca52d
	s_mov_b32 s48, s30
	v_mul_f64 v[126:127], v[76:77], s[46:47]
	v_mul_f64 v[133:134], v[76:77], s[48:49]
	v_fma_f64 v[131:132], v[68:69], s[28:29], v[122:123]
	v_fma_f64 v[122:123], v[68:69], s[28:29], -v[122:123]
	v_fma_f64 v[135:136], v[68:69], s[24:25], v[124:125]
	v_mul_f64 v[128:129], v[82:83], s[42:43]
	v_mul_f64 v[137:138], v[82:83], s[34:35]
	s_mov_b32 s51, 0x3fe58eea
	v_fma_f64 v[139:140], v[72:73], s[2:3], v[126:127]
	v_fma_f64 v[126:127], v[72:73], s[2:3], -v[126:127]
	v_add_f64 v[131:132], v[131:132], v[4:5]
	v_fma_f64 v[141:142], v[72:73], s[8:9], v[133:134]
	v_add_f64 v[122:123], v[122:123], v[4:5]
	v_add_f64 v[135:136], v[135:136], v[4:5]
	s_mov_b32 s50, s26
	s_mov_b32 s53, 0x3fe9895b
	;; [unrolled: 1-line block ×3, first 2 shown]
	v_mul_f64 v[143:144], v[88:89], s[50:51]
	v_fma_f64 v[145:146], v[78:79], s[24:25], v[128:129]
	v_fma_f64 v[128:129], v[78:79], s[24:25], -v[128:129]
	v_add_f64 v[131:132], v[139:140], v[131:132]
	v_fma_f64 v[139:140], v[78:79], s[14:15], v[137:138]
	v_add_f64 v[122:123], v[126:127], v[122:123]
	v_add_f64 v[126:127], v[141:142], v[135:136]
	v_mul_f64 v[141:142], v[88:89], s[52:53]
	v_mul_f64 v[135:136], v[104:105], s[38:39]
	v_fma_f64 v[124:125], v[68:69], s[24:25], -v[124:125]
	s_mov_b32 s55, 0x3feec746
	v_add_f64 v[131:132], v[145:146], v[131:132]
	v_fma_f64 v[145:146], v[84:85], s[6:7], v[143:144]
	v_add_f64 v[122:123], v[128:129], v[122:123]
	v_add_f64 v[126:127], v[139:140], v[126:127]
	v_fma_f64 v[128:129], v[84:85], s[6:7], -v[143:144]
	v_fma_f64 v[147:148], v[84:85], s[18:19], v[141:142]
	v_mul_f64 v[139:140], v[104:105], s[22:23]
	v_mul_f64 v[143:144], v[102:103], s[48:49]
	v_fma_f64 v[149:150], v[90:91], s[18:19], v[135:136]
	v_add_f64 v[131:132], v[145:146], v[131:132]
	v_fma_f64 v[135:136], v[90:91], s[18:19], -v[135:136]
	s_mov_b32 s54, s36
	v_add_f64 v[122:123], v[128:129], v[122:123]
	v_add_f64 v[126:127], v[147:148], v[126:127]
	v_mul_f64 v[147:148], v[70:71], s[38:39]
	v_mul_f64 v[145:146], v[102:103], s[40:41]
	v_fma_f64 v[151:152], v[90:91], s[2:3], v[139:140]
	v_fma_f64 v[153:154], v[94:95], s[8:9], v[143:144]
	v_add_f64 v[128:129], v[149:150], v[131:132]
	v_fma_f64 v[143:144], v[94:95], s[8:9], -v[143:144]
	v_fma_f64 v[133:134], v[72:73], s[8:9], -v[133:134]
	v_add_f64 v[122:123], v[135:136], v[122:123]
	v_add_f64 v[124:125], v[124:125], v[4:5]
	v_fma_f64 v[135:136], v[68:69], s[18:19], v[147:148]
	v_mul_f64 v[149:150], v[76:77], s[54:55]
	v_mul_f64 v[131:132], v[116:117], s[36:37]
	v_add_f64 v[126:127], v[151:152], v[126:127]
	v_add_f64 v[128:129], v[153:154], v[128:129]
	v_mul_f64 v[153:154], v[116:117], s[50:51]
	v_add_f64 v[122:123], v[143:144], v[122:123]
	v_fma_f64 v[143:144], v[94:95], s[28:29], v[145:146]
	v_add_f64 v[124:125], v[133:134], v[124:125]
	v_fma_f64 v[133:134], v[78:79], s[14:15], -v[137:138]
	v_add_f64 v[135:136], v[135:136], v[4:5]
	v_fma_f64 v[137:138], v[72:73], s[16:17], v[149:150]
	v_mul_f64 v[155:156], v[82:83], s[22:23]
	v_fma_f64 v[151:152], v[100:101], s[16:17], v[131:132]
	v_fma_f64 v[131:132], v[100:101], s[16:17], -v[131:132]
	v_add_f64 v[126:127], v[143:144], v[126:127]
	v_fma_f64 v[143:144], v[100:101], s[6:7], v[153:154]
	v_add_f64 v[124:125], v[133:134], v[124:125]
	v_fma_f64 v[133:134], v[84:85], s[18:19], -v[141:142]
	v_add_f64 v[135:136], v[137:138], v[135:136]
	v_fma_f64 v[137:138], v[78:79], s[2:3], v[155:156]
	v_mul_f64 v[141:142], v[88:89], s[42:43]
	s_mov_b32 s59, 0x3fefdd0d
	s_mov_b32 s58, s34
	v_add_f64 v[128:129], v[151:152], v[128:129]
	v_mul_f64 v[151:152], v[120:121], s[58:59]
	v_add_f64 v[131:132], v[131:132], v[122:123]
	v_add_f64 v[122:123], v[133:134], v[124:125]
	v_fma_f64 v[124:125], v[90:91], s[2:3], -v[139:140]
	v_add_f64 v[133:134], v[137:138], v[135:136]
	v_fma_f64 v[135:136], v[84:85], s[24:25], v[141:142]
	v_mul_f64 v[137:138], v[104:105], s[58:59]
	v_add_f64 v[139:140], v[143:144], v[126:127]
	v_fma_f64 v[143:144], v[68:69], s[18:19], -v[147:148]
	v_fma_f64 v[126:127], v[106:107], s[14:15], v[151:152]
	v_mul_f64 v[147:148], v[120:121], s[36:37]
	v_mul_f64 v[157:158], v[102:103], s[26:27]
	v_fma_f64 v[149:150], v[72:73], s[16:17], -v[149:150]
	v_add_f64 v[133:134], v[135:136], v[133:134]
	v_fma_f64 v[135:136], v[90:91], s[14:15], v[137:138]
	v_add_f64 v[124:125], v[124:125], v[122:123]
	v_add_f64 v[143:144], v[143:144], v[4:5]
	v_fma_f64 v[145:146], v[94:95], s[28:29], -v[145:146]
	v_add_f64 v[122:123], v[126:127], v[128:129]
	v_fma_f64 v[126:127], v[106:107], s[14:15], -v[151:152]
	v_fma_f64 v[128:129], v[106:107], s[16:17], v[147:148]
	v_fma_f64 v[151:152], v[100:101], s[6:7], -v[153:154]
	v_add_f64 v[133:134], v[135:136], v[133:134]
	v_fma_f64 v[135:136], v[94:95], s[6:7], v[157:158]
	v_add_f64 v[143:144], v[149:150], v[143:144]
	v_fma_f64 v[149:150], v[78:79], s[2:3], -v[155:156]
	v_add_f64 v[145:146], v[145:146], v[124:125]
	v_add_f64 v[126:127], v[126:127], v[131:132]
	v_mul_f64 v[131:132], v[116:117], s[40:41]
	v_add_f64 v[124:125], v[128:129], v[139:140]
	v_mul_f64 v[139:140], v[70:71], s[36:37]
	v_add_f64 v[133:134], v[135:136], v[133:134]
	v_fma_f64 v[141:142], v[84:85], s[24:25], -v[141:142]
	v_add_f64 v[135:136], v[149:150], v[143:144]
	s_mov_b32 s57, 0x3fe0d888
	s_mov_b32 s56, s42
	v_add_f64 v[128:129], v[151:152], v[145:146]
	v_fma_f64 v[145:146], v[106:107], s[16:17], -v[147:148]
	v_fma_f64 v[143:144], v[100:101], s[28:29], v[131:132]
	v_fma_f64 v[147:148], v[68:69], s[16:17], v[139:140]
	v_mul_f64 v[149:150], v[76:77], s[56:57]
	v_add_f64 v[135:136], v[141:142], v[135:136]
	v_fma_f64 v[139:140], v[68:69], s[16:17], -v[139:140]
	v_fma_f64 v[137:138], v[90:91], s[14:15], -v[137:138]
	v_mul_f64 v[153:154], v[70:71], s[34:35]
	v_add_f64 v[128:129], v[145:146], v[128:129]
	v_mul_f64 v[145:146], v[120:121], s[48:49]
	v_add_f64 v[133:134], v[143:144], v[133:134]
	v_add_f64 v[141:142], v[147:148], v[4:5]
	v_fma_f64 v[143:144], v[72:73], s[24:25], v[149:150]
	v_mul_f64 v[147:148], v[82:83], s[50:51]
	v_fma_f64 v[149:150], v[72:73], s[24:25], -v[149:150]
	v_add_f64 v[139:140], v[139:140], v[4:5]
	v_add_f64 v[135:136], v[137:138], v[135:136]
	v_fma_f64 v[137:138], v[94:95], s[6:7], -v[157:158]
	v_fma_f64 v[151:152], v[106:107], s[8:9], v[145:146]
	v_mul_f64 v[155:156], v[88:89], s[30:31]
	v_add_f64 v[141:142], v[143:144], v[141:142]
	v_fma_f64 v[143:144], v[78:79], s[6:7], v[147:148]
	v_fma_f64 v[147:148], v[78:79], s[6:7], -v[147:148]
	v_add_f64 v[139:140], v[149:150], v[139:140]
	v_mul_f64 v[149:150], v[76:77], s[40:41]
	v_add_f64 v[135:136], v[137:138], v[135:136]
	v_fma_f64 v[137:138], v[68:69], s[14:15], v[153:154]
	v_add_f64 v[133:134], v[151:152], v[133:134]
	v_mul_f64 v[151:152], v[104:105], s[40:41]
	v_add_f64 v[141:142], v[143:144], v[141:142]
	v_fma_f64 v[143:144], v[84:85], s[8:9], v[155:156]
	v_fma_f64 v[131:132], v[100:101], s[28:29], -v[131:132]
	v_add_f64 v[139:140], v[147:148], v[139:140]
	v_fma_f64 v[147:148], v[84:85], s[8:9], -v[155:156]
	v_add_f64 v[137:138], v[137:138], v[4:5]
	v_fma_f64 v[155:156], v[72:73], s[28:29], v[149:150]
	v_mul_f64 v[157:158], v[82:83], s[54:55]
	v_mul_f64 v[159:160], v[102:103], s[58:59]
	v_add_f64 v[141:142], v[143:144], v[141:142]
	v_fma_f64 v[143:144], v[90:91], s[28:29], v[151:152]
	v_add_f64 v[131:132], v[131:132], v[135:136]
	v_add_f64 v[135:136], v[147:148], v[139:140]
	v_fma_f64 v[139:140], v[90:91], s[28:29], -v[151:152]
	v_add_f64 v[137:138], v[155:156], v[137:138]
	v_fma_f64 v[147:148], v[78:79], s[16:17], v[157:158]
	v_mul_f64 v[151:152], v[88:89], s[46:47]
	v_mul_f64 v[155:156], v[116:117], s[22:23]
	v_add_f64 v[141:142], v[143:144], v[141:142]
	v_fma_f64 v[143:144], v[94:95], s[14:15], v[159:160]
	v_fma_f64 v[153:154], v[68:69], s[14:15], -v[153:154]
	v_add_f64 v[135:136], v[139:140], v[135:136]
	v_fma_f64 v[139:140], v[94:95], s[14:15], -v[159:160]
	v_add_f64 v[137:138], v[147:148], v[137:138]
	v_fma_f64 v[147:148], v[84:85], s[2:3], v[151:152]
	v_mul_f64 v[159:160], v[104:105], s[30:31]
	v_mul_f64 v[161:162], v[120:121], s[38:39]
	v_fma_f64 v[145:146], v[106:107], s[8:9], -v[145:146]
	v_add_f64 v[141:142], v[143:144], v[141:142]
	v_fma_f64 v[143:144], v[100:101], s[2:3], v[155:156]
	v_add_f64 v[135:136], v[139:140], v[135:136]
	v_fma_f64 v[139:140], v[100:101], s[2:3], -v[155:156]
	v_add_f64 v[137:138], v[147:148], v[137:138]
	v_fma_f64 v[147:148], v[90:91], s[8:9], v[159:160]
	v_fma_f64 v[149:150], v[72:73], s[28:29], -v[149:150]
	v_add_f64 v[153:154], v[153:154], v[4:5]
	v_add_f64 v[131:132], v[145:146], v[131:132]
	;; [unrolled: 1-line block ×3, first 2 shown]
	v_fma_f64 v[143:144], v[106:107], s[18:19], v[161:162]
	v_add_f64 v[135:136], v[139:140], v[135:136]
	v_fma_f64 v[139:140], v[106:107], s[18:19], -v[161:162]
	v_add_f64 v[137:138], v[147:148], v[137:138]
	v_mul_f64 v[147:148], v[70:71], s[30:31]
	v_add_f64 v[149:150], v[149:150], v[153:154]
	v_fma_f64 v[153:154], v[78:79], s[16:17], -v[157:158]
	v_mul_f64 v[155:156], v[102:103], s[42:43]
	v_add_f64 v[141:142], v[143:144], v[141:142]
	v_add_f64 v[157:158], v[60:61], v[4:5]
	;; [unrolled: 1-line block ×3, first 2 shown]
	v_mul_f64 v[139:140], v[76:77], s[38:39]
	v_fma_f64 v[145:146], v[68:69], s[8:9], v[147:148]
	v_fma_f64 v[143:144], v[68:69], s[8:9], -v[147:148]
	v_add_f64 v[147:148], v[153:154], v[149:150]
	v_fma_f64 v[149:150], v[84:85], s[2:3], -v[151:152]
	v_fma_f64 v[161:162], v[94:95], s[24:25], v[155:156]
	s_mov_b32 s59, 0x3fc7851a
	s_mov_b32 s58, s40
	v_fma_f64 v[151:152], v[72:73], s[18:19], -v[139:140]
	v_add_f64 v[145:146], v[145:146], v[4:5]
	v_fma_f64 v[139:140], v[72:73], s[18:19], v[139:140]
	v_add_f64 v[143:144], v[143:144], v[4:5]
	v_mul_f64 v[153:154], v[82:83], s[58:59]
	v_add_f64 v[137:138], v[161:162], v[137:138]
	v_mul_f64 v[161:162], v[116:117], s[52:53]
	v_add_f64 v[147:148], v[149:150], v[147:148]
	v_fma_f64 v[149:150], v[90:91], s[8:9], -v[159:160]
	v_mul_f64 v[159:160], v[88:89], s[54:55]
	v_add_f64 v[139:140], v[139:140], v[145:146]
	v_add_f64 v[145:146], v[64:65], v[157:158]
	v_add_f64 v[143:144], v[151:152], v[143:144]
	v_fma_f64 v[151:152], v[78:79], s[28:29], -v[153:154]
	v_fma_f64 v[153:154], v[78:79], s[28:29], v[153:154]
	v_fma_f64 v[157:158], v[100:101], s[18:19], v[161:162]
	v_add_f64 v[147:148], v[149:150], v[147:148]
	v_fma_f64 v[149:150], v[94:95], s[24:25], -v[155:156]
	v_mul_f64 v[155:156], v[104:105], s[50:51]
	v_add_f64 v[145:146], v[56:57], v[145:146]
	v_mul_f64 v[163:164], v[116:117], s[34:35]
	v_add_f64 v[143:144], v[151:152], v[143:144]
	v_fma_f64 v[151:152], v[84:85], s[16:17], -v[159:160]
	v_add_f64 v[139:140], v[153:154], v[139:140]
	v_fma_f64 v[153:154], v[84:85], s[16:17], v[159:160]
	v_add_f64 v[137:138], v[157:158], v[137:138]
	v_mul_f64 v[157:158], v[70:71], s[26:27]
	v_add_f64 v[145:146], v[52:53], v[145:146]
	v_add_f64 v[147:148], v[149:150], v[147:148]
	v_fma_f64 v[149:150], v[90:91], s[6:7], -v[155:156]
	v_add_f64 v[143:144], v[151:152], v[143:144]
	v_mul_f64 v[151:152], v[102:103], s[22:23]
	v_add_f64 v[139:140], v[153:154], v[139:140]
	v_fma_f64 v[153:154], v[90:91], s[6:7], v[155:156]
	v_fma_f64 v[155:156], v[68:69], s[6:7], v[157:158]
	v_add_f64 v[145:146], v[48:49], v[145:146]
	v_mul_f64 v[159:160], v[76:77], s[34:35]
	v_mul_f64 v[165:166], v[82:83], s[38:39]
	v_add_f64 v[143:144], v[149:150], v[143:144]
	v_fma_f64 v[149:150], v[94:95], s[2:3], -v[151:152]
	v_mul_f64 v[70:71], v[70:71], s[22:23]
	v_add_f64 v[139:140], v[153:154], v[139:140]
	v_add_f64 v[153:154], v[155:156], v[4:5]
	;; [unrolled: 1-line block ×3, first 2 shown]
	v_fma_f64 v[155:156], v[72:73], s[14:15], v[159:160]
	v_fma_f64 v[68:69], v[68:69], s[6:7], -v[157:158]
	v_mul_f64 v[76:77], v[76:77], s[26:27]
	v_add_f64 v[143:144], v[149:150], v[143:144]
	v_fma_f64 v[149:150], v[100:101], s[14:15], -v[163:164]
	v_add_f64 v[70:71], v[74:75], -v[70:71]
	v_mul_f64 v[74:75], v[88:89], s[40:41]
	v_add_f64 v[145:146], v[40:41], v[145:146]
	v_add_f64 v[153:154], v[155:156], v[153:154]
	v_fma_f64 v[155:156], v[78:79], s[18:19], v[165:166]
	v_fma_f64 v[72:73], v[72:73], s[14:15], -v[159:160]
	v_add_f64 v[68:69], v[68:69], v[4:5]
	v_add_f64 v[143:144], v[149:150], v[143:144]
	v_mul_f64 v[82:83], v[82:83], s[30:31]
	v_add_f64 v[76:77], v[80:81], -v[76:77]
	v_add_f64 v[145:146], v[36:37], v[145:146]
	v_add_f64 v[4:5], v[70:71], v[4:5]
	;; [unrolled: 1-line block ×3, first 2 shown]
	v_fma_f64 v[70:71], v[84:85], s[28:29], v[74:75]
	v_mul_f64 v[80:81], v[104:105], s[56:57]
	v_fma_f64 v[78:79], v[78:79], s[18:19], -v[165:166]
	v_add_f64 v[68:69], v[72:73], v[68:69]
	v_add_f64 v[72:73], v[86:87], -v[82:83]
	v_add_f64 v[145:146], v[28:29], v[145:146]
	v_mul_f64 v[82:83], v[88:89], s[34:35]
	v_add_f64 v[4:5], v[76:77], v[4:5]
	v_add_f64 v[70:71], v[70:71], v[149:150]
	v_fma_f64 v[76:77], v[90:91], s[24:25], v[80:81]
	v_fma_f64 v[74:75], v[84:85], s[28:29], -v[74:75]
	v_add_f64 v[68:69], v[78:79], v[68:69]
	v_mul_f64 v[78:79], v[104:105], s[36:37]
	v_add_f64 v[84:85], v[32:33], v[145:146]
	v_add_f64 v[82:83], v[92:93], -v[82:83]
	v_add_f64 v[4:5], v[72:73], v[4:5]
	v_mul_f64 v[72:73], v[102:103], s[54:55]
	v_add_f64 v[70:71], v[76:77], v[70:71]
	v_fma_f64 v[76:77], v[90:91], s[24:25], -v[80:81]
	v_add_f64 v[68:69], v[74:75], v[68:69]
	v_add_f64 v[74:75], v[98:99], -v[78:79]
	v_add_f64 v[80:81], v[24:25], v[84:85]
	v_mul_f64 v[78:79], v[102:103], s[38:39]
	v_add_f64 v[4:5], v[82:83], v[4:5]
	v_fma_f64 v[82:83], v[94:95], s[16:17], v[72:73]
	v_fma_f64 v[72:73], v[94:95], s[16:17], -v[72:73]
	v_mul_f64 v[84:85], v[116:117], s[48:49]
	v_add_f64 v[68:69], v[76:77], v[68:69]
	v_mul_f64 v[76:77], v[116:117], s[42:43]
	v_add_f64 v[80:81], v[16:17], v[80:81]
	v_add_f64 v[78:79], v[96:97], -v[78:79]
	v_add_f64 v[4:5], v[74:75], v[4:5]
	v_fma_f64 v[151:152], v[94:95], s[2:3], v[151:152]
	v_add_f64 v[70:71], v[82:83], v[70:71]
	v_fma_f64 v[82:83], v[100:101], s[8:9], -v[84:85]
	v_add_f64 v[68:69], v[72:73], v[68:69]
	v_add_f64 v[72:73], v[114:115], -v[76:77]
	v_add_f64 v[80:81], v[20:21], v[80:81]
	v_mul_f64 v[76:77], v[120:121], s[40:41]
	v_add_f64 v[4:5], v[78:79], v[4:5]
	v_mul_f64 v[86:87], v[120:121], s[42:43]
	v_mul_f64 v[88:89], v[120:121], s[46:47]
	v_fma_f64 v[161:162], v[100:101], s[18:19], -v[161:162]
	v_mul_f64 v[78:79], v[120:121], s[50:51]
	v_add_f64 v[139:140], v[151:152], v[139:140]
	v_add_f64 v[80:81], v[12:13], v[80:81]
	v_fma_f64 v[74:75], v[100:101], s[14:15], v[163:164]
	v_fma_f64 v[84:85], v[100:101], s[8:9], v[84:85]
	v_add_f64 v[76:77], v[118:119], -v[76:77]
	v_add_f64 v[4:5], v[72:73], v[4:5]
	v_add_f64 v[68:69], v[82:83], v[68:69]
	v_fma_f64 v[82:83], v[106:107], s[24:25], -v[86:87]
	v_fma_f64 v[90:91], v[106:107], s[2:3], -v[88:89]
	v_add_f64 v[80:81], v[8:9], v[80:81]
	v_add_f64 v[147:148], v[161:162], v[147:148]
	v_fma_f64 v[72:73], v[106:107], s[6:7], v[78:79]
	v_fma_f64 v[78:79], v[106:107], s[6:7], -v[78:79]
	v_add_f64 v[74:75], v[74:75], v[139:140]
	v_fma_f64 v[86:87], v[106:107], s[24:25], v[86:87]
	v_fma_f64 v[88:89], v[106:107], s[2:3], v[88:89]
	v_add_f64 v[70:71], v[84:85], v[70:71]
	v_add_f64 v[4:5], v[76:77], v[4:5]
	;; [unrolled: 1-line block ×7, first 2 shown]
	s_movk_i32 s33, 0x88
	v_add_f64 v[74:75], v[86:87], v[74:75]
	v_add_f64 v[70:71], v[88:89], v[70:71]
	v_mad_u32_u24 v80, v130, s33, 0
	ds_write2_b64 v80, v[76:77], v[4:5] offset1:1
	ds_write2_b64 v80, v[68:69], v[82:83] offset0:2 offset1:3
	ds_write2_b64 v80, v[78:79], v[135:136] offset0:4 offset1:5
	;; [unrolled: 1-line block ×7, first 2 shown]
	ds_write_b64 v80, v[112:113] offset:128
.LBB0_13:
	s_or_b64 exec, exec, s[44:45]
	v_add_f64 v[124:125], v[60:61], -v[0:1]
	v_add_f64 v[120:121], v[62:63], v[2:3]
	v_add_f64 v[118:119], v[64:65], -v[8:9]
	v_add_f64 v[106:107], v[10:11], v[66:67]
	;; [unrolled: 2-line block ×4, first 2 shown]
	v_mul_f64 v[122:123], v[124:125], s[22:23]
	v_add_f64 v[52:53], v[48:49], -v[16:17]
	v_mul_f64 v[126:127], v[118:119], s[26:27]
	v_add_f64 v[48:49], v[18:19], v[50:51]
	v_mul_f64 v[116:117], v[104:105], s[30:31]
	v_add_f64 v[44:45], v[44:45], -v[24:25]
	v_mul_f64 v[102:103], v[60:61], s[34:35]
	v_add_f64 v[20:21], v[46:47], v[26:27]
	v_fma_f64 v[0:1], v[120:121], s[2:3], -v[122:123]
	v_mul_f64 v[64:65], v[52:53], s[36:37]
	v_fma_f64 v[4:5], v[106:107], s[6:7], -v[126:127]
	v_add_f64 v[12:13], v[40:41], -v[32:33]
	v_fma_f64 v[8:9], v[100:101], s[8:9], -v[116:117]
	v_mul_f64 v[40:41], v[44:45], s[38:39]
	v_lshl_add_u32 v128, v130, 3, 0
	v_add_u32_e32 v129, 0x1800, v128
	v_add_f64 v[0:1], v[0:1], v[6:7]
	v_fma_f64 v[16:17], v[48:49], s[16:17], -v[64:65]
	s_waitcnt lgkmcnt(0)
	s_barrier
	v_fma_f64 v[24:25], v[20:21], s[18:19], -v[40:41]
	ds_read2_b64 v[76:79], v128 offset1:102
	v_add_u32_e32 v131, 0x400, v128
	v_add_f64 v[0:1], v[0:1], v[4:5]
	v_fma_f64 v[4:5], v[56:57], s[14:15], -v[102:103]
	v_add_u32_e32 v134, 0x2400, v128
	v_add_u32_e32 v132, 0x1000, v128
	;; [unrolled: 1-line block ×3, first 2 shown]
	v_add_f64 v[0:1], v[8:9], v[0:1]
	v_add_f64 v[8:9], v[34:35], v[42:43]
	;; [unrolled: 1-line block ×3, first 2 shown]
	v_add_f64 v[4:5], v[36:37], -v[28:29]
	v_mul_f64 v[28:29], v[12:13], s[42:43]
	v_add_u32_e32 v36, 0x1c00, v128
	v_add_u32_e32 v37, 0x800, v128
	v_add_f64 v[32:33], v[16:17], v[0:1]
	v_add_f64 v[0:1], v[30:31], v[38:39]
	v_mul_f64 v[16:17], v[4:5], s[40:41]
	v_fma_f64 v[68:69], v[8:9], s[24:25], -v[28:29]
	v_add_f64 v[24:25], v[24:25], v[32:33]
	v_fma_f64 v[32:33], v[0:1], s[28:29], -v[16:17]
	v_add_f64 v[24:25], v[68:69], v[24:25]
	ds_read2_b64 v[96:99], v129 offset0:48 offset1:150
	ds_read2_b64 v[80:83], v131 offset0:76 offset1:178
	;; [unrolled: 1-line block ×7, first 2 shown]
	s_waitcnt lgkmcnt(0)
	s_barrier
	v_add_f64 v[114:115], v[32:33], v[24:25]
	s_and_saveexec_b64 s[22:23], s[0:1]
	s_cbranch_execz .LBB0_15
; %bb.14:
	v_add_f64 v[24:25], v[62:63], v[6:7]
	v_mul_f64 v[141:142], v[48:49], s[16:17]
	s_mov_b32 s16, 0x923c349f
	s_mov_b32 s17, 0xbfeec746
	v_mul_f64 v[137:138], v[100:101], s[8:9]
	v_mul_f64 v[143:144], v[20:21], s[18:19]
	s_mov_b32 s34, 0x2a9d6da3
	s_mov_b32 s8, 0xc61f0d01
	v_add_f64 v[66:67], v[66:67], v[24:25]
	s_mov_b32 s18, 0x6c9a05f6
	s_mov_b32 s26, 0x4363dd80
	;; [unrolled: 1-line block ×7, first 2 shown]
	v_add_f64 v[58:59], v[58:59], v[66:67]
	s_mov_b32 s52, s26
	v_mul_f64 v[62:63], v[120:121], s[2:3]
	v_mul_f64 v[66:67], v[124:125], s[18:19]
	;; [unrolled: 1-line block ×4, first 2 shown]
	s_mov_b32 s40, 0x7c9e640b
	s_mov_b32 s28, 0xeb564b22
	v_add_f64 v[54:55], v[54:55], v[58:59]
	s_mov_b32 s14, 0x6ed5f1bb
	s_mov_b32 s38, 0xacd6c6b4
	;; [unrolled: 1-line block ×7, first 2 shown]
	v_add_f64 v[50:51], v[50:51], v[54:55]
	s_mov_b32 s48, s16
	v_mul_f64 v[135:136], v[106:107], s[6:7]
	v_mul_f64 v[54:55], v[124:125], s[40:41]
	;; [unrolled: 1-line block ×6, first 2 shown]
	v_add_f64 v[46:47], v[46:47], v[50:51]
	v_mul_f64 v[50:51], v[124:125], s[34:35]
	v_add_f64 v[62:63], v[62:63], v[122:123]
	v_fma_f64 v[157:158], v[120:121], s[14:15], v[66:67]
	v_fma_f64 v[66:67], v[120:121], s[14:15], -v[66:67]
	s_mov_b32 s0, 0x2b2883cd
	s_mov_b32 s2, 0x3259b75e
	;; [unrolled: 1-line block ×3, first 2 shown]
	v_add_f64 v[42:43], v[42:43], v[46:47]
	v_mul_f64 v[46:47], v[124:125], s[16:17]
	v_mul_f64 v[124:125], v[124:125], s[38:39]
	v_fma_f64 v[122:123], v[120:121], s[6:7], v[50:51]
	v_fma_f64 v[50:51], v[120:121], s[6:7], -v[50:51]
	s_mov_b32 s42, 0x5d8e7cdc
	s_mov_b32 s1, 0x3fdc86fa
	;; [unrolled: 1-line block ×3, first 2 shown]
	v_add_f64 v[38:39], v[38:39], v[42:43]
	v_mul_f64 v[42:43], v[118:119], s[52:53]
	s_mov_b32 s37, 0xbfef7484
	s_mov_b32 s31, 0x3feca52d
	;; [unrolled: 1-line block ×4, first 2 shown]
	v_mul_f64 v[149:150], v[118:119], s[18:19]
	v_mul_f64 v[151:152], v[118:119], s[38:39]
	v_add_f64 v[30:31], v[30:31], v[38:39]
	v_mul_f64 v[155:156], v[118:119], s[30:31]
	v_add_f64 v[38:39], v[135:136], v[126:127]
	v_fma_f64 v[126:127], v[120:121], s[0:1], v[54:55]
	v_fma_f64 v[54:55], v[120:121], s[0:1], -v[54:55]
	v_fma_f64 v[135:136], v[120:121], s[2:3], v[58:59]
	v_fma_f64 v[58:59], v[120:121], s[2:3], -v[58:59]
	v_fma_f64 v[159:160], v[120:121], s[24:25], v[145:146]
	v_add_f64 v[30:31], v[34:35], v[30:31]
	v_fma_f64 v[34:35], v[120:121], s[8:9], v[46:47]
	v_fma_f64 v[46:47], v[120:121], s[8:9], -v[46:47]
	v_fma_f64 v[145:146], v[120:121], s[24:25], -v[145:146]
	v_fma_f64 v[161:162], v[120:121], s[36:37], v[124:125]
	v_fma_f64 v[165:166], v[106:107], s[8:9], v[153:154]
	v_fma_f64 v[153:154], v[106:107], s[8:9], -v[153:154]
	v_add_f64 v[122:123], v[122:123], v[6:7]
	v_add_f64 v[26:27], v[26:27], v[30:31]
	;; [unrolled: 1-line block ×4, first 2 shown]
	v_fma_f64 v[30:31], v[120:121], s[36:37], -v[124:125]
	v_fma_f64 v[120:121], v[106:107], s[2:3], v[147:148]
	v_fma_f64 v[124:125], v[106:107], s[2:3], -v[147:148]
	v_add_f64 v[66:67], v[66:67], v[6:7]
	s_mov_b32 s44, 0x370991
	v_add_f64 v[18:19], v[18:19], v[26:27]
	v_fma_f64 v[26:27], v[106:107], s[24:25], v[42:43]
	v_fma_f64 v[42:43], v[106:107], s[24:25], -v[42:43]
	s_mov_b32 s45, 0x3fedd6d0
	s_mov_b32 s47, 0x3fc7851a
	;; [unrolled: 1-line block ×3, first 2 shown]
	v_fma_f64 v[147:148], v[106:107], s[14:15], v[149:150]
	v_fma_f64 v[149:150], v[106:107], s[14:15], -v[149:150]
	v_add_f64 v[18:19], v[22:23], v[18:19]
	v_add_f64 v[22:23], v[50:51], v[6:7]
	;; [unrolled: 1-line block ×3, first 2 shown]
	v_mul_f64 v[34:35], v[118:119], s[42:43]
	v_fma_f64 v[163:164], v[106:107], s[36:37], v[151:152]
	v_fma_f64 v[151:152], v[106:107], s[36:37], -v[151:152]
	v_fma_f64 v[167:168], v[106:107], s[0:1], v[155:156]
	v_add_f64 v[62:63], v[62:63], v[6:7]
	v_add_f64 v[14:15], v[14:15], v[18:19]
	;; [unrolled: 1-line block ×14, first 2 shown]
	v_fma_f64 v[118:119], v[106:107], s[44:45], v[34:35]
	v_fma_f64 v[34:35], v[106:107], s[44:45], -v[34:35]
	v_mul_f64 v[120:121], v[104:105], s[46:47]
	v_add_f64 v[2:3], v[2:3], v[10:11]
	v_add_f64 v[10:11], v[46:47], v[42:43]
	v_mul_f64 v[46:47], v[104:105], s[18:19]
	v_add_f64 v[42:43], v[66:67], v[153:154]
	v_fma_f64 v[66:67], v[106:107], s[0:1], -v[155:156]
	v_add_f64 v[106:107], v[137:138], v[116:117]
	v_add_f64 v[30:31], v[62:63], v[38:39]
	;; [unrolled: 1-line block ×4, first 2 shown]
	v_mul_f64 v[122:123], v[104:105], s[48:49]
	v_fma_f64 v[116:117], v[100:101], s[14:15], v[46:47]
	v_fma_f64 v[46:47], v[100:101], s[14:15], -v[46:47]
	v_add_f64 v[6:7], v[6:7], v[34:35]
	v_fma_f64 v[34:35], v[100:101], s[36:37], v[120:121]
	s_mov_b32 s47, 0x3fe58eea
	s_mov_b32 s46, s34
	;; [unrolled: 1-line block ×4, first 2 shown]
	v_add_f64 v[54:55], v[126:127], v[163:164]
	v_add_f64 v[22:23], v[46:47], v[22:23]
	v_fma_f64 v[46:47], v[100:101], s[36:37], -v[120:121]
	v_add_f64 v[58:59], v[58:59], v[151:152]
	v_add_f64 v[30:31], v[106:107], v[30:31]
	v_add_f64 v[14:15], v[116:117], v[14:15]
	v_fma_f64 v[106:107], v[100:101], s[8:9], v[122:123]
	v_mul_f64 v[116:117], v[104:105], s[46:47]
	v_mul_f64 v[120:121], v[104:105], s[50:51]
	v_add_f64 v[34:35], v[34:35], v[38:39]
	v_add_f64 v[38:39], v[46:47], v[50:51]
	v_fma_f64 v[46:47], v[100:101], s[8:9], -v[122:123]
	v_mul_f64 v[50:51], v[104:105], s[28:29]
	v_add_f64 v[18:19], v[18:19], v[165:166]
	v_add_f64 v[62:63], v[135:136], v[167:168]
	;; [unrolled: 1-line block ×3, first 2 shown]
	v_fma_f64 v[122:123], v[100:101], s[6:7], v[116:117]
	v_add_f64 v[54:55], v[106:107], v[54:55]
	v_fma_f64 v[106:107], v[100:101], s[6:7], -v[116:117]
	v_fma_f64 v[116:117], v[100:101], s[44:45], v[120:121]
	v_mul_f64 v[104:105], v[104:105], s[26:27]
	v_add_f64 v[46:47], v[46:47], v[58:59]
	v_fma_f64 v[58:59], v[100:101], s[2:3], v[50:51]
	v_fma_f64 v[50:51], v[100:101], s[2:3], -v[50:51]
	v_add_f64 v[118:119], v[157:158], v[118:119]
	v_fma_f64 v[120:121], v[100:101], s[44:45], -v[120:121]
	v_add_f64 v[10:11], v[106:107], v[10:11]
	v_add_f64 v[18:19], v[116:117], v[18:19]
	v_fma_f64 v[106:107], v[100:101], s[24:25], v[104:105]
	v_mul_f64 v[116:117], v[60:61], s[38:39]
	v_add_f64 v[58:59], v[58:59], v[62:63]
	v_mul_f64 v[62:63], v[60:61], s[48:49]
	v_add_f64 v[50:51], v[50:51], v[66:67]
	v_fma_f64 v[66:67], v[100:101], s[24:25], -v[104:105]
	v_mul_f64 v[100:101], v[60:61], s[42:43]
	v_add_f64 v[102:103], v[139:140], v[102:103]
	v_add_f64 v[104:105], v[106:107], v[118:119]
	v_fma_f64 v[106:107], v[56:57], s[36:37], v[116:117]
	s_mov_b32 s55, 0x3fe9895b
	v_fma_f64 v[118:119], v[56:57], s[8:9], v[62:63]
	v_fma_f64 v[62:63], v[56:57], s[8:9], -v[62:63]
	v_add_f64 v[6:7], v[66:67], v[6:7]
	v_fma_f64 v[66:67], v[56:57], s[44:45], v[100:101]
	v_add_f64 v[30:31], v[102:103], v[30:31]
	v_mul_f64 v[102:103], v[60:61], s[40:41]
	s_mov_b32 s54, s18
	v_add_f64 v[26:27], v[122:123], v[26:27]
	v_fma_f64 v[116:117], v[56:57], s[36:37], -v[116:117]
	v_add_f64 v[14:15], v[106:107], v[14:15]
	v_add_f64 v[38:39], v[62:63], v[38:39]
	v_mul_f64 v[62:63], v[60:61], s[26:27]
	v_add_f64 v[54:55], v[66:67], v[54:55]
	v_fma_f64 v[66:67], v[56:57], s[44:45], -v[100:101]
	v_fma_f64 v[100:101], v[56:57], s[0:1], v[102:103]
	v_mul_f64 v[106:107], v[60:61], s[54:55]
	v_add_f64 v[42:43], v[120:121], v[42:43]
	v_add_f64 v[22:23], v[116:117], v[22:23]
	v_fma_f64 v[102:103], v[56:57], s[0:1], -v[102:103]
	v_fma_f64 v[116:117], v[56:57], s[24:25], v[62:63]
	v_fma_f64 v[62:63], v[56:57], s[24:25], -v[62:63]
	v_add_f64 v[46:47], v[66:67], v[46:47]
	v_mul_f64 v[60:61], v[60:61], s[46:47]
	v_add_f64 v[26:27], v[100:101], v[26:27]
	v_mul_f64 v[66:67], v[52:53], s[52:53]
	v_fma_f64 v[100:101], v[56:57], s[14:15], v[106:107]
	v_add_f64 v[10:11], v[102:103], v[10:11]
	v_add_f64 v[34:35], v[118:119], v[34:35]
	;; [unrolled: 1-line block ×3, first 2 shown]
	v_fma_f64 v[62:63], v[56:57], s[14:15], -v[106:107]
	v_fma_f64 v[102:103], v[56:57], s[6:7], v[60:61]
	v_fma_f64 v[56:57], v[56:57], s[6:7], -v[60:61]
	v_add_f64 v[60:61], v[141:142], v[64:65]
	v_fma_f64 v[64:65], v[48:49], s[24:25], v[66:67]
	v_add_f64 v[58:59], v[100:101], v[58:59]
	v_mul_f64 v[100:101], v[52:53], s[46:47]
	v_fma_f64 v[66:67], v[48:49], s[24:25], -v[66:67]
	v_add_f64 v[50:51], v[62:63], v[50:51]
	v_add_f64 v[62:63], v[102:103], v[104:105]
	;; [unrolled: 1-line block ×5, first 2 shown]
	v_mul_f64 v[56:57], v[52:53], s[40:41]
	v_fma_f64 v[60:61], v[48:49], s[6:7], v[100:101]
	v_add_f64 v[22:23], v[66:67], v[22:23]
	v_fma_f64 v[64:65], v[48:49], s[6:7], -v[100:101]
	v_mul_f64 v[66:67], v[52:53], s[38:39]
	s_mov_b32 s41, 0x3fefdd0d
	s_mov_b32 s40, s28
	v_mul_f64 v[100:101], v[52:53], s[40:41]
	v_fma_f64 v[102:103], v[48:49], s[0:1], v[56:57]
	v_add_f64 v[34:35], v[60:61], v[34:35]
	v_fma_f64 v[56:57], v[48:49], s[0:1], -v[56:57]
	v_add_f64 v[38:39], v[64:65], v[38:39]
	v_fma_f64 v[60:61], v[48:49], s[36:37], v[66:67]
	v_mul_f64 v[64:65], v[52:53], s[50:51]
	v_fma_f64 v[66:67], v[48:49], s[36:37], -v[66:67]
	v_mul_f64 v[52:53], v[52:53], s[18:19]
	v_fma_f64 v[104:105], v[48:49], s[2:3], v[100:101]
	v_add_f64 v[40:41], v[143:144], v[40:41]
	v_add_f64 v[46:47], v[56:57], v[46:47]
	v_fma_f64 v[56:57], v[48:49], s[2:3], -v[100:101]
	v_add_f64 v[26:27], v[60:61], v[26:27]
	v_fma_f64 v[60:61], v[48:49], s[44:45], v[64:65]
	v_add_f64 v[10:11], v[66:67], v[10:11]
	v_fma_f64 v[64:65], v[48:49], s[44:45], -v[64:65]
	v_fma_f64 v[66:67], v[48:49], s[14:15], v[52:53]
	v_mul_f64 v[100:101], v[44:45], s[48:49]
	v_fma_f64 v[48:49], v[48:49], s[14:15], -v[52:53]
	v_add_f64 v[42:43], v[56:57], v[42:43]
	v_mul_f64 v[56:57], v[44:45], s[50:51]
	v_add_f64 v[52:53], v[60:61], v[58:59]
	v_add_f64 v[30:31], v[40:41], v[30:31]
	;; [unrolled: 1-line block ×4, first 2 shown]
	v_fma_f64 v[60:61], v[20:21], s[8:9], v[100:101]
	v_fma_f64 v[62:63], v[20:21], s[8:9], -v[100:101]
	v_add_f64 v[6:7], v[48:49], v[6:7]
	v_mul_f64 v[48:49], v[44:45], s[26:27]
	v_fma_f64 v[40:41], v[20:21], s[44:45], v[56:57]
	v_fma_f64 v[56:57], v[20:21], s[44:45], -v[56:57]
	v_mul_f64 v[64:65], v[44:45], s[40:41]
	v_mul_f64 v[32:33], v[8:9], s[24:25]
	v_add_f64 v[14:15], v[60:61], v[14:15]
	v_add_f64 v[22:23], v[62:63], v[22:23]
	v_mul_f64 v[60:61], v[44:45], s[34:35]
	v_fma_f64 v[62:63], v[20:21], s[24:25], v[48:49]
	v_fma_f64 v[48:49], v[20:21], s[24:25], -v[48:49]
	v_add_f64 v[54:55], v[102:103], v[54:55]
	v_add_f64 v[34:35], v[40:41], v[34:35]
	v_add_f64 v[38:39], v[56:57], v[38:39]
	v_fma_f64 v[40:41], v[20:21], s[2:3], v[64:65]
	v_mul_f64 v[56:57], v[44:45], s[38:39]
	v_fma_f64 v[66:67], v[20:21], s[6:7], v[60:61]
	v_mul_f64 v[44:45], v[44:45], s[30:31]
	v_add_f64 v[46:47], v[48:49], v[46:47]
	v_fma_f64 v[48:49], v[20:21], s[6:7], -v[60:61]
	v_mul_f64 v[60:61], v[12:13], s[30:31]
	v_fma_f64 v[64:65], v[20:21], s[2:3], -v[64:65]
	v_add_f64 v[54:55], v[62:63], v[54:55]
	v_add_f64 v[26:27], v[40:41], v[26:27]
	v_fma_f64 v[40:41], v[20:21], s[36:37], v[56:57]
	v_fma_f64 v[56:57], v[20:21], s[36:37], -v[56:57]
	v_fma_f64 v[62:63], v[20:21], s[0:1], v[44:45]
	v_fma_f64 v[20:21], v[20:21], s[0:1], -v[44:45]
	v_mul_f64 v[44:45], v[12:13], s[28:29]
	v_add_f64 v[28:29], v[32:33], v[28:29]
	v_fma_f64 v[32:33], v[8:9], s[0:1], v[60:61]
	v_add_f64 v[42:43], v[48:49], v[42:43]
	v_add_f64 v[40:41], v[40:41], v[52:53]
	v_add_f64 v[48:49], v[56:57], v[50:51]
	v_fma_f64 v[52:53], v[8:9], s[0:1], -v[60:61]
	v_add_f64 v[6:7], v[20:21], v[6:7]
	v_mul_f64 v[20:21], v[12:13], s[54:55]
	v_fma_f64 v[56:57], v[8:9], s[2:3], v[44:45]
	v_add_f64 v[28:29], v[28:29], v[30:31]
	v_add_f64 v[14:15], v[32:33], v[14:15]
	v_fma_f64 v[30:31], v[8:9], s[2:3], -v[44:45]
	v_mul_f64 v[32:33], v[12:13], s[50:51]
	v_mul_f64 v[44:45], v[12:13], s[38:39]
	v_add_f64 v[10:11], v[64:65], v[10:11]
	v_add_f64 v[22:23], v[52:53], v[22:23]
	v_fma_f64 v[52:53], v[8:9], s[14:15], v[20:21]
	v_add_f64 v[34:35], v[56:57], v[34:35]
	v_fma_f64 v[20:21], v[8:9], s[14:15], -v[20:21]
	v_mul_f64 v[56:57], v[12:13], s[46:47]
	v_add_f64 v[30:31], v[30:31], v[38:39]
	v_fma_f64 v[38:39], v[8:9], s[44:45], v[32:33]
	v_fma_f64 v[32:33], v[8:9], s[44:45], -v[32:33]
	v_add_f64 v[50:51], v[62:63], v[58:59]
	v_fma_f64 v[58:59], v[8:9], s[36:37], v[44:45]
	v_fma_f64 v[44:45], v[8:9], s[36:37], -v[44:45]
	v_mul_f64 v[12:13], v[12:13], s[16:17]
	v_add_f64 v[20:21], v[20:21], v[46:47]
	v_fma_f64 v[46:47], v[8:9], s[6:7], v[56:57]
	v_add_f64 v[18:19], v[116:117], v[18:19]
	v_add_f64 v[10:11], v[32:33], v[10:11]
	v_mul_f64 v[32:33], v[4:5], s[42:43]
	v_add_f64 v[26:27], v[38:39], v[26:27]
	v_add_f64 v[38:39], v[44:45], v[42:43]
	v_fma_f64 v[42:43], v[8:9], s[6:7], -v[56:57]
	v_fma_f64 v[44:45], v[8:9], s[8:9], v[12:13]
	v_fma_f64 v[8:9], v[8:9], s[8:9], -v[12:13]
	v_add_f64 v[12:13], v[24:25], v[16:17]
	v_mul_f64 v[16:17], v[4:5], s[26:27]
	v_add_f64 v[40:41], v[46:47], v[40:41]
	v_fma_f64 v[24:25], v[0:1], s[44:45], v[32:33]
	v_fma_f64 v[32:33], v[0:1], s[44:45], -v[32:33]
	v_mul_f64 v[46:47], v[4:5], s[46:47]
	v_add_f64 v[18:19], v[104:105], v[18:19]
	v_add_f64 v[6:7], v[8:9], v[6:7]
	;; [unrolled: 1-line block ×3, first 2 shown]
	v_fma_f64 v[12:13], v[0:1], s[24:25], v[16:17]
	v_fma_f64 v[16:17], v[0:1], s[24:25], -v[16:17]
	v_add_f64 v[14:15], v[24:25], v[14:15]
	v_add_f64 v[22:23], v[32:33], v[22:23]
	v_fma_f64 v[28:29], v[0:1], s[6:7], -v[46:47]
	v_mul_f64 v[32:33], v[4:5], s[18:19]
	v_add_f64 v[18:19], v[66:67], v[18:19]
	v_fma_f64 v[24:25], v[0:1], s[6:7], v[46:47]
	v_mul_f64 v[46:47], v[4:5], s[30:31]
	v_add_f64 v[12:13], v[12:13], v[34:35]
	v_mul_f64 v[34:35], v[4:5], s[16:17]
	v_mul_f64 v[4:5], v[4:5], s[40:41]
	v_add_f64 v[52:53], v[52:53], v[54:55]
	v_add_f64 v[20:21], v[28:29], v[20:21]
	v_fma_f64 v[28:29], v[0:1], s[14:15], v[32:33]
	v_add_f64 v[18:19], v[58:59], v[18:19]
	v_add_f64 v[42:43], v[42:43], v[48:49]
	v_add_f64 v[16:17], v[16:17], v[30:31]
	v_fma_f64 v[30:31], v[0:1], s[0:1], v[46:47]
	v_fma_f64 v[48:49], v[0:1], s[8:9], v[34:35]
	v_add_f64 v[44:45], v[44:45], v[50:51]
	v_fma_f64 v[50:51], v[0:1], s[2:3], v[4:5]
	v_fma_f64 v[4:5], v[0:1], s[2:3], -v[4:5]
	v_fma_f64 v[46:47], v[0:1], s[0:1], -v[46:47]
	;; [unrolled: 1-line block ×4, first 2 shown]
	v_add_f64 v[24:25], v[24:25], v[52:53]
	v_add_f64 v[26:27], v[28:29], v[26:27]
	;; [unrolled: 1-line block ×9, first 2 shown]
	v_lshl_add_u32 v10, v130, 7, v128
	ds_write2_b64 v10, v[2:3], v[8:9] offset1:1
	ds_write2_b64 v10, v[14:15], v[12:13] offset0:2 offset1:3
	ds_write2_b64 v10, v[24:25], v[26:27] offset0:4 offset1:5
	;; [unrolled: 1-line block ×7, first 2 shown]
	ds_write_b64 v10, v[114:115] offset:128
.LBB0_15:
	s_or_b64 exec, exec, s[22:23]
	s_movk_i32 s0, 0xf1
	v_add_u32_e32 v122, 0x66, v130
	v_mul_lo_u16_sdwa v136, v130, s0 dst_sel:DWORD dst_unused:UNUSED_PAD src0_sel:BYTE_0 src1_sel:DWORD
	v_lshrrev_b16_e32 v137, 12, v136
	v_mul_lo_u16_sdwa v140, v122, s0 dst_sel:DWORD dst_unused:UNUSED_PAD src0_sel:BYTE_0 src1_sel:DWORD
	v_add_u32_e32 v125, 0xcc, v130
	v_mul_lo_u16_e32 v0, 17, v137
	v_lshrrev_b16_e32 v141, 12, v140
	s_mov_b32 s0, 0xf0f1
	v_add_u32_e32 v127, 0x132, v130
	v_sub_u16_e32 v138, v130, v0
	v_mov_b32_e32 v139, 4
	v_mul_lo_u16_e32 v0, 17, v141
	v_mul_u32_u24_sdwa v143, v125, s0 dst_sel:DWORD dst_unused:UNUSED_PAD src0_sel:WORD_0 src1_sel:DWORD
	v_lshlrev_b32_sdwa v8, v139, v138 dst_sel:DWORD dst_unused:UNUSED_PAD src0_sel:DWORD src1_sel:BYTE_0
	v_sub_u16_e32 v142, v122, v0
	v_lshrrev_b32_e32 v144, 20, v143
	v_mul_u32_u24_sdwa v146, v127, s0 dst_sel:DWORD dst_unused:UNUSED_PAD src0_sel:WORD_0 src1_sel:DWORD
	s_load_dwordx2 s[4:5], s[4:5], 0x0
	v_add_u32_e32 v124, 0x198, v130
	s_waitcnt lgkmcnt(0)
	s_barrier
	v_lshlrev_b32_sdwa v9, v139, v142 dst_sel:DWORD dst_unused:UNUSED_PAD src0_sel:DWORD src1_sel:BYTE_0
	global_load_dwordx4 v[0:3], v8, s[12:13]
	global_load_dwordx4 v[4:7], v9, s[12:13]
	v_mul_lo_u16_e32 v8, 17, v144
	v_lshrrev_b32_e32 v147, 20, v146
	v_add_u32_e32 v126, 0x1fe, v130
	v_sub_u16_e32 v145, v125, v8
	v_mul_lo_u16_e32 v8, 17, v147
	v_mul_u32_u24_sdwa v149, v124, s0 dst_sel:DWORD dst_unused:UNUSED_PAD src0_sel:WORD_0 src1_sel:DWORD
	v_lshlrev_b32_e32 v16, 4, v145
	v_sub_u16_e32 v148, v127, v8
	v_lshrrev_b32_e32 v150, 20, v149
	v_mul_u32_u24_sdwa v152, v126, s0 dst_sel:DWORD dst_unused:UNUSED_PAD src0_sel:WORD_0 src1_sel:DWORD
	v_lshlrev_b32_e32 v17, 4, v148
	global_load_dwordx4 v[8:11], v16, s[12:13]
	global_load_dwordx4 v[12:15], v17, s[12:13]
	v_mul_lo_u16_e32 v16, 17, v150
	v_lshrrev_b32_e32 v153, 20, v152
	v_add_u32_e32 v123, 0x264, v130
	v_add_u32_e32 v135, 0x2ca, v130
	v_sub_u16_e32 v151, v124, v16
	v_mul_lo_u16_e32 v16, 17, v153
	v_sub_u16_e32 v154, v126, v16
	v_mul_u32_u24_sdwa v155, v123, s0 dst_sel:DWORD dst_unused:UNUSED_PAD src0_sel:WORD_0 src1_sel:DWORD
	v_mul_u32_u24_sdwa v158, v135, s0 dst_sel:DWORD dst_unused:UNUSED_PAD src0_sel:WORD_0 src1_sel:DWORD
	v_lshlrev_b32_e32 v24, 4, v151
	v_lshlrev_b32_e32 v25, 4, v154
	v_lshrrev_b32_e32 v156, 20, v155
	v_lshrrev_b32_e32 v159, 20, v158
	global_load_dwordx4 v[16:19], v24, s[12:13]
	global_load_dwordx4 v[20:23], v25, s[12:13]
	v_mul_lo_u16_e32 v24, 17, v156
	v_mul_lo_u16_e32 v25, 17, v159
	v_sub_u16_e32 v157, v123, v24
	v_sub_u16_e32 v160, v135, v25
	v_lshlrev_b32_e32 v24, 4, v157
	v_lshlrev_b32_e32 v28, 4, v160
	global_load_dwordx4 v[24:27], v24, s[12:13]
	v_lshrrev_b16_e32 v136, 13, v136
	global_load_dwordx4 v[28:31], v28, s[12:13]
	ds_read2_b64 v[32:35], v128 offset1:102
	ds_read2_b64 v[38:41], v129 offset0:48 offset1:150
	ds_read2_b64 v[42:45], v131 offset0:76 offset1:178
	;; [unrolled: 1-line block ×7, first 2 shown]
	s_waitcnt vmcnt(0) lgkmcnt(0)
	s_barrier
	v_lshrrev_b16_e32 v140, 13, v140
	v_cmp_gt_u32_e64 s[0:1], 34, v130
	v_mul_f64 v[66:67], v[38:39], v[2:3]
	v_mul_f64 v[2:3], v[96:97], v[2:3]
	;; [unrolled: 1-line block ×4, first 2 shown]
	v_fma_f64 v[66:67], v[96:97], v[0:1], -v[66:67]
	v_fma_f64 v[0:1], v[38:39], v[0:1], v[2:3]
	v_fma_f64 v[2:3], v[98:99], v[4:5], -v[100:101]
	v_fma_f64 v[4:5], v[40:41], v[4:5], v[6:7]
	v_mul_f64 v[102:103], v[46:47], v[10:11]
	v_mul_f64 v[10:11], v[92:93], v[10:11]
	;; [unrolled: 1-line block ×4, first 2 shown]
	v_add_f64 v[38:39], v[32:33], -v[0:1]
	v_add_f64 v[0:1], v[78:79], -v[2:3]
	v_fma_f64 v[6:7], v[92:93], v[8:9], -v[102:103]
	v_fma_f64 v[8:9], v[46:47], v[8:9], v[10:11]
	v_fma_f64 v[10:11], v[94:95], v[12:13], -v[104:105]
	v_fma_f64 v[12:13], v[48:49], v[12:13], v[14:15]
	v_add_f64 v[46:47], v[34:35], -v[4:5]
	v_fma_f64 v[32:33], v[32:33], 2.0, -v[38:39]
	v_mul_f64 v[106:107], v[54:55], v[18:19]
	v_mul_f64 v[18:19], v[84:85], v[18:19]
	;; [unrolled: 1-line block ×4, first 2 shown]
	v_add_f64 v[48:49], v[42:43], -v[8:9]
	v_add_f64 v[2:3], v[80:81], -v[6:7]
	;; [unrolled: 1-line block ×3, first 2 shown]
	v_fma_f64 v[8:9], v[78:79], 2.0, -v[0:1]
	v_mul_f64 v[118:119], v[62:63], v[26:27]
	v_mul_f64 v[26:27], v[88:89], v[26:27]
	v_mul_f64 v[120:121], v[64:65], v[30:31]
	v_mul_f64 v[30:31], v[90:91], v[30:31]
	v_fma_f64 v[14:15], v[84:85], v[16:17], -v[106:107]
	v_fma_f64 v[16:17], v[54:55], v[16:17], v[18:19]
	v_fma_f64 v[18:19], v[86:87], v[20:21], -v[116:117]
	v_fma_f64 v[20:21], v[56:57], v[20:21], v[22:23]
	;; [unrolled: 2-line block ×4, first 2 shown]
	v_add_f64 v[30:31], v[76:77], -v[66:67]
	v_add_f64 v[14:15], v[68:69], -v[14:15]
	v_add_f64 v[62:63], v[50:51], -v[16:17]
	v_add_f64 v[16:17], v[70:71], -v[18:19]
	v_add_f64 v[64:65], v[52:53], -v[20:21]
	v_add_f64 v[18:19], v[72:73], -v[22:23]
	v_add_f64 v[20:21], v[74:75], -v[26:27]
	v_add_f64 v[54:55], v[44:45], -v[12:13]
	v_fma_f64 v[6:7], v[76:77], 2.0, -v[30:31]
	v_fma_f64 v[56:57], v[42:43], 2.0, -v[48:49]
	v_mul_u32_u24_e32 v42, 0x110, v137
	v_mov_b32_e32 v137, 3
	v_lshlrev_b32_sdwa v43, v137, v138 dst_sel:DWORD dst_unused:UNUSED_PAD src0_sel:DWORD src1_sel:BYTE_0
	v_add_f64 v[66:67], v[58:59], -v[24:25]
	v_fma_f64 v[22:23], v[68:69], 2.0, -v[14:15]
	v_add3_u32 v68, 0, v42, v43
	v_add_f64 v[28:29], v[60:61], -v[28:29]
	ds_write2_b64 v68, v[6:7], v[30:31] offset1:17
	v_mul_u32_u24_e32 v6, 0x110, v141
	v_lshlrev_b32_sdwa v7, v137, v142 dst_sel:DWORD dst_unused:UNUSED_PAD src0_sel:DWORD src1_sel:BYTE_0
	v_fma_f64 v[10:11], v[80:81], 2.0, -v[2:3]
	v_fma_f64 v[12:13], v[82:83], 2.0, -v[4:5]
	;; [unrolled: 1-line block ×5, first 2 shown]
	v_add3_u32 v30, 0, v6, v7
	v_fma_f64 v[34:35], v[34:35], 2.0, -v[46:47]
	ds_write2_b64 v30, v[8:9], v[0:1] offset1:17
	v_mul_u32_u24_e32 v0, 0x110, v144
	v_lshlrev_b32_e32 v1, 3, v145
	v_add3_u32 v31, 0, v0, v1
	v_mul_u32_u24_e32 v0, 0x110, v147
	v_lshlrev_b32_e32 v1, 3, v148
	v_fma_f64 v[44:45], v[44:45], 2.0, -v[54:55]
	v_add3_u32 v69, 0, v0, v1
	v_mul_u32_u24_e32 v0, 0x110, v150
	v_lshlrev_b32_e32 v1, 3, v151
	v_fma_f64 v[50:51], v[50:51], 2.0, -v[62:63]
	;; [unrolled: 4-line block ×5, first 2 shown]
	v_add3_u32 v73, 0, v0, v1
	ds_write2_b64 v31, v[10:11], v[2:3] offset1:17
	ds_write2_b64 v69, v[12:13], v[4:5] offset1:17
	;; [unrolled: 1-line block ×6, first 2 shown]
	s_waitcnt lgkmcnt(0)
	s_barrier
	ds_read2_b64 v[8:11], v128 offset1:102
	ds_read2_b64 v[40:43], v129 offset0:48 offset1:150
	ds_read2_b64 v[12:15], v131 offset0:76 offset1:178
	;; [unrolled: 1-line block ×7, first 2 shown]
	s_waitcnt lgkmcnt(0)
	s_barrier
	ds_write2_b64 v68, v[32:33], v[38:39] offset1:17
	ds_write2_b64 v30, v[34:35], v[46:47] offset1:17
	ds_write2_b64 v31, v[56:57], v[48:49] offset1:17
	ds_write2_b64 v69, v[44:45], v[54:55] offset1:17
	ds_write2_b64 v70, v[50:51], v[62:63] offset1:17
	ds_write2_b64 v71, v[52:53], v[64:65] offset1:17
	ds_write2_b64 v72, v[58:59], v[66:67] offset1:17
	ds_write2_b64 v73, v[60:61], v[28:29] offset1:17
	v_mul_lo_u16_e32 v28, 34, v136
	v_mul_lo_u16_e32 v29, 34, v140
	v_sub_u16_e32 v138, v130, v28
	v_sub_u16_e32 v141, v122, v29
	v_lshlrev_b32_sdwa v28, v139, v138 dst_sel:DWORD dst_unused:UNUSED_PAD src0_sel:DWORD src1_sel:BYTE_0
	v_lshlrev_b32_sdwa v29, v139, v141 dst_sel:DWORD dst_unused:UNUSED_PAD src0_sel:DWORD src1_sel:BYTE_0
	v_lshrrev_b32_e32 v139, 21, v143
	s_waitcnt lgkmcnt(0)
	s_barrier
	global_load_dwordx4 v[44:47], v28, s[12:13] offset:272
	global_load_dwordx4 v[48:51], v29, s[12:13] offset:272
	v_mul_lo_u16_e32 v28, 34, v139
	v_lshrrev_b32_e32 v143, 21, v146
	v_sub_u16_e32 v142, v125, v28
	v_mul_lo_u16_e32 v29, 34, v143
	v_lshlrev_b32_e32 v28, 4, v142
	v_sub_u16_e32 v144, v127, v29
	v_lshrrev_b32_e32 v145, 21, v149
	v_lshlrev_b32_e32 v29, 4, v144
	global_load_dwordx4 v[52:55], v28, s[12:13] offset:272
	global_load_dwordx4 v[56:59], v29, s[12:13] offset:272
	v_mul_lo_u16_e32 v28, 34, v145
	v_lshrrev_b32_e32 v147, 21, v152
	v_sub_u16_e32 v146, v124, v28
	v_mul_lo_u16_e32 v29, 34, v147
	v_lshlrev_b32_e32 v28, 4, v146
	v_sub_u16_e32 v148, v126, v29
	v_lshrrev_b32_e32 v149, 21, v155
	v_lshlrev_b32_e32 v29, 4, v148
	global_load_dwordx4 v[60:63], v28, s[12:13] offset:272
	global_load_dwordx4 v[64:67], v29, s[12:13] offset:272
	v_mul_lo_u16_e32 v28, 34, v149
	v_lshrrev_b32_e32 v151, 21, v158
	v_sub_u16_e32 v150, v123, v28
	v_mul_lo_u16_e32 v29, 34, v151
	v_lshlrev_b32_e32 v28, 4, v150
	v_sub_u16_e32 v152, v135, v29
	v_lshlrev_b32_e32 v29, 4, v152
	global_load_dwordx4 v[84:87], v28, s[12:13] offset:272
	global_load_dwordx4 v[88:91], v29, s[12:13] offset:272
	ds_read2_b64 v[68:71], v128 offset1:102
	ds_read2_b64 v[92:95], v129 offset0:48 offset1:150
	ds_read2_b64 v[72:75], v131 offset0:76 offset1:178
	;; [unrolled: 1-line block ×7, first 2 shown]
	s_waitcnt vmcnt(0) lgkmcnt(0)
	s_barrier
	v_mul_f64 v[28:29], v[92:93], v[46:47]
	v_mul_f64 v[30:31], v[94:95], v[50:51]
	v_fma_f64 v[28:29], v[40:41], v[44:45], -v[28:29]
	v_mul_f64 v[32:33], v[96:97], v[54:55]
	v_mul_f64 v[34:35], v[98:99], v[58:59]
	v_fma_f64 v[30:31], v[42:43], v[48:49], -v[30:31]
	v_add_f64 v[28:29], v[8:9], -v[28:29]
	v_fma_f64 v[32:33], v[16:17], v[52:53], -v[32:33]
	v_mul_f64 v[36:37], v[100:101], v[62:63]
	v_mul_f64 v[38:39], v[102:103], v[66:67]
	v_fma_f64 v[34:35], v[18:19], v[56:57], -v[34:35]
	v_add_f64 v[30:31], v[10:11], -v[30:31]
	v_fma_f64 v[8:9], v[8:9], 2.0, -v[28:29]
	v_add_f64 v[32:33], v[12:13], -v[32:33]
	v_mul_f64 v[116:117], v[104:105], v[86:87]
	v_mul_f64 v[118:119], v[106:107], v[90:91]
	v_fma_f64 v[36:37], v[4:5], v[60:61], -v[36:37]
	v_fma_f64 v[38:39], v[6:7], v[64:65], -v[38:39]
	v_add_f64 v[34:35], v[14:15], -v[34:35]
	v_fma_f64 v[10:11], v[10:11], 2.0, -v[30:31]
	v_fma_f64 v[12:13], v[12:13], 2.0, -v[32:33]
	v_fma_f64 v[116:117], v[0:1], v[84:85], -v[116:117]
	v_fma_f64 v[118:119], v[2:3], v[88:89], -v[118:119]
	v_add_f64 v[36:37], v[20:21], -v[36:37]
	v_add_f64 v[38:39], v[22:23], -v[38:39]
	v_fma_f64 v[14:15], v[14:15], 2.0, -v[34:35]
	v_add_f64 v[120:121], v[24:25], -v[116:117]
	v_add_f64 v[116:117], v[26:27], -v[118:119]
	v_mul_u32_u24_e32 v118, 0x220, v136
	v_lshlrev_b32_sdwa v119, v137, v138 dst_sel:DWORD dst_unused:UNUSED_PAD src0_sel:DWORD src1_sel:BYTE_0
	v_add3_u32 v134, 0, v118, v119
	v_fma_f64 v[20:21], v[20:21], 2.0, -v[36:37]
	v_fma_f64 v[22:23], v[22:23], 2.0, -v[38:39]
	ds_write2_b64 v134, v[8:9], v[28:29] offset1:34
	v_fma_f64 v[24:25], v[24:25], 2.0, -v[120:121]
	v_fma_f64 v[26:27], v[26:27], 2.0, -v[116:117]
	v_mul_u32_u24_e32 v8, 0x220, v140
	v_lshlrev_b32_sdwa v9, v137, v141 dst_sel:DWORD dst_unused:UNUSED_PAD src0_sel:DWORD src1_sel:BYTE_0
	v_add3_u32 v135, 0, v8, v9
	v_mul_u32_u24_e32 v8, 0x220, v139
	v_lshlrev_b32_e32 v9, 3, v142
	v_add3_u32 v136, 0, v8, v9
	v_mul_u32_u24_e32 v8, 0x220, v143
	v_lshlrev_b32_e32 v9, 3, v144
	;; [unrolled: 3-line block ×6, first 2 shown]
	v_add3_u32 v141, 0, v8, v9
	v_add_u32_e32 v142, 0xc00, v128
	v_add_u32_e32 v143, 0x2000, v128
	ds_write2_b64 v135, v[10:11], v[30:31] offset1:34
	ds_write2_b64 v136, v[12:13], v[32:33] offset1:34
	;; [unrolled: 1-line block ×7, first 2 shown]
	s_waitcnt lgkmcnt(0)
	s_barrier
	ds_read2_b64 v[20:23], v128 offset1:102
	ds_read2_b64 v[8:11], v142 offset0:24 offset1:160
	ds_read2_b64 v[36:39], v143 offset0:64 offset1:166
	;; [unrolled: 1-line block ×6, first 2 shown]
	ds_read_b64 v[120:121], v128 offset:11968
                                        ; implicit-def: $vgpr118_vgpr119
	s_and_saveexec_b64 s[2:3], s[0:1]
	s_cbranch_execz .LBB0_17
; %bb.16:
	ds_read_b64 v[116:117], v128 offset:4080
	ds_read_b64 v[112:113], v128 offset:8432
	;; [unrolled: 1-line block ×3, first 2 shown]
.LBB0_17:
	s_or_b64 exec, exec, s[2:3]
	v_mul_f64 v[40:41], v[40:41], v[46:47]
	v_mul_f64 v[42:43], v[42:43], v[50:51]
	v_mul_f64 v[16:17], v[16:17], v[54:55]
	v_mul_f64 v[18:19], v[18:19], v[58:59]
	v_mul_f64 v[4:5], v[4:5], v[62:63]
	v_mul_f64 v[6:7], v[6:7], v[66:67]
	v_mul_f64 v[0:1], v[0:1], v[86:87]
	v_mul_f64 v[2:3], v[2:3], v[90:91]
	v_fma_f64 v[40:41], v[92:93], v[44:45], v[40:41]
	v_fma_f64 v[42:43], v[94:95], v[48:49], v[42:43]
	;; [unrolled: 1-line block ×8, first 2 shown]
	v_add_f64 v[40:41], v[68:69], -v[40:41]
	v_add_f64 v[42:43], v[70:71], -v[42:43]
	;; [unrolled: 1-line block ×8, first 2 shown]
	v_fma_f64 v[2:3], v[68:69], 2.0, -v[40:41]
	v_fma_f64 v[44:45], v[70:71], 2.0, -v[42:43]
	;; [unrolled: 1-line block ×8, first 2 shown]
	s_waitcnt lgkmcnt(0)
	s_barrier
	ds_write2_b64 v134, v[2:3], v[40:41] offset1:34
	ds_write2_b64 v135, v[44:45], v[42:43] offset1:34
	ds_write2_b64 v136, v[46:47], v[16:17] offset1:34
	ds_write2_b64 v137, v[48:49], v[18:19] offset1:34
	ds_write2_b64 v138, v[50:51], v[4:5] offset1:34
	ds_write2_b64 v139, v[52:53], v[6:7] offset1:34
	ds_write2_b64 v140, v[54:55], v[0:1] offset1:34
	ds_write2_b64 v141, v[58:59], v[56:57] offset1:34
	v_add_u32_e32 v4, 0x1000, v128
	v_add_u32_e32 v40, 0x2800, v128
	s_waitcnt lgkmcnt(0)
	s_barrier
	ds_read2_b64 v[16:19], v128 offset1:102
	ds_read2_b64 v[0:3], v142 offset0:24 offset1:160
	ds_read2_b64 v[52:55], v143 offset0:64 offset1:166
	;; [unrolled: 1-line block ×3, first 2 shown]
	v_add_u32_e32 v4, 0x400, v128
	ds_read2_b64 v[44:47], v40 offset0:12 offset1:114
	v_add_u32_e32 v40, 0x1800, v128
	ds_read2_b64 v[4:7], v4 offset0:76 offset1:178
	ds_read2_b64 v[40:43], v40 offset0:82 offset1:184
	ds_read_b64 v[60:61], v128 offset:11968
                                        ; implicit-def: $vgpr58_vgpr59
	s_and_saveexec_b64 s[2:3], s[0:1]
	s_cbranch_execz .LBB0_19
; %bb.18:
	ds_read_b64 v[56:57], v128 offset:4080
	ds_read_b64 v[114:115], v128 offset:8432
	;; [unrolled: 1-line block ×3, first 2 shown]
.LBB0_19:
	s_or_b64 exec, exec, s[2:3]
	s_movk_i32 s2, 0x44
	v_add_u32_e32 v62, 0xffffffbc, v130
	v_cmp_gt_u32_e64 s[2:3], s2, v130
	v_cndmask_b32_e64 v129, v62, v130, s[2:3]
	v_lshlrev_b32_e32 v62, 1, v129
	v_mov_b32_e32 v63, 0
	v_lshlrev_b64 v[62:63], 4, v[62:63]
	v_mov_b32_e32 v64, s13
	v_add_co_u32_e64 v70, s[2:3], s12, v62
	v_addc_co_u32_e64 v71, s[2:3], v64, v63, s[2:3]
	s_movk_i32 s2, 0x79
	global_load_dwordx4 v[62:65], v[70:71], off offset:832
	global_load_dwordx4 v[66:69], v[70:71], off offset:816
	v_mul_lo_u16_sdwa v70, v122, s2 dst_sel:DWORD dst_unused:UNUSED_PAD src0_sel:BYTE_0 src1_sel:DWORD
	v_lshrrev_b16_e32 v157, 13, v70
	v_mul_lo_u16_e32 v70, 0x44, v157
	v_sub_u16_e32 v158, v122, v70
	v_mov_b32_e32 v70, 5
	v_lshlrev_b32_sdwa v70, v70, v158 dst_sel:DWORD dst_unused:UNUSED_PAD src0_sel:DWORD src1_sel:BYTE_0
	s_mov_b32 s2, 0xf0f1
	global_load_dwordx4 v[76:79], v70, s[12:13] offset:832
	global_load_dwordx4 v[72:75], v70, s[12:13] offset:816
	v_mul_u32_u24_sdwa v70, v125, s2 dst_sel:DWORD dst_unused:UNUSED_PAD src0_sel:WORD_0 src1_sel:DWORD
	v_lshrrev_b32_e32 v159, 22, v70
	v_mul_lo_u16_e32 v70, 0x44, v159
	v_sub_u16_e32 v160, v125, v70
	v_lshlrev_b32_e32 v70, 5, v160
	global_load_dwordx4 v[80:83], v70, s[12:13] offset:832
	global_load_dwordx4 v[84:87], v70, s[12:13] offset:816
	v_mul_u32_u24_sdwa v70, v127, s2 dst_sel:DWORD dst_unused:UNUSED_PAD src0_sel:WORD_0 src1_sel:DWORD
	v_lshrrev_b32_e32 v161, 22, v70
	v_mul_lo_u16_e32 v70, 0x44, v161
	v_sub_u16_e32 v162, v127, v70
	v_lshlrev_b32_e32 v70, 5, v162
	;; [unrolled: 7-line block ×4, first 2 shown]
	global_load_dwordx4 v[104:107], v70, s[12:13] offset:816
	global_load_dwordx4 v[131:134], v70, s[12:13] offset:832
	s_mov_b32 s6, 0xe8584caa
	s_mov_b32 s7, 0x3febb67a
	;; [unrolled: 1-line block ×4, first 2 shown]
	s_movk_i32 s2, 0x43
	v_cmp_lt_u32_e64 s[2:3], s2, v130
	s_waitcnt vmcnt(0) lgkmcnt(0)
	s_barrier
	v_mul_f64 v[126:127], v[52:53], v[64:65]
	v_mul_f64 v[70:71], v[2:3], v[68:69]
	;; [unrolled: 1-line block ×8, first 2 shown]
	v_fma_f64 v[64:65], v[10:11], v[66:67], -v[70:71]
	v_fma_f64 v[68:69], v[2:3], v[66:67], v[68:69]
	v_fma_f64 v[70:71], v[36:37], v[62:63], -v[126:127]
	v_mul_f64 v[141:142], v[50:51], v[86:87]
	v_mul_f64 v[86:87], v[34:35], v[86:87]
	v_fma_f64 v[66:67], v[32:33], v[72:73], -v[137:138]
	v_fma_f64 v[74:75], v[48:49], v[72:73], v[74:75]
	v_fma_f64 v[72:73], v[38:39], v[76:77], -v[139:140]
	v_mul_f64 v[147:148], v[46:47], v[90:91]
	v_mul_f64 v[90:91], v[30:31], v[90:91]
	;; [unrolled: 1-line block ×5, first 2 shown]
	v_fma_f64 v[52:53], v[52:53], v[62:63], v[135:136]
	v_mul_f64 v[151:152], v[60:61], v[98:99]
	v_mul_f64 v[149:150], v[42:43], v[102:103]
	;; [unrolled: 1-line block ×4, first 2 shown]
	v_fma_f64 v[62:63], v[54:55], v[76:77], v[78:79]
	v_fma_f64 v[10:11], v[46:47], v[88:89], v[90:91]
	v_add_f64 v[38:39], v[64:65], v[70:71]
	v_add_f64 v[46:47], v[66:67], v[72:73]
	v_fma_f64 v[48:49], v[34:35], v[84:85], -v[141:142]
	v_fma_f64 v[54:55], v[50:51], v[84:85], v[86:87]
	v_fma_f64 v[50:51], v[28:29], v[80:81], -v[143:144]
	v_mul_f64 v[94:95], v[24:25], v[94:95]
	v_mul_f64 v[155:156], v[58:59], v[133:134]
	;; [unrolled: 1-line block ×3, first 2 shown]
	v_fma_f64 v[2:3], v[44:45], v[80:81], v[82:83]
	v_fma_f64 v[28:29], v[24:25], v[92:93], -v[145:146]
	v_fma_f64 v[30:31], v[30:31], v[88:89], -v[147:148]
	;; [unrolled: 1-line block ×3, first 2 shown]
	v_fma_f64 v[44:45], v[42:43], v[100:101], v[102:103]
	v_fma_f64 v[42:43], v[120:121], v[96:97], -v[151:152]
	v_fma_f64 v[24:25], v[60:61], v[96:97], v[98:99]
	v_add_f64 v[60:61], v[20:21], v[64:65]
	v_add_f64 v[76:77], v[68:69], -v[52:53]
	v_add_f64 v[78:79], v[22:23], v[66:67]
	v_fma_f64 v[20:21], v[38:39], -0.5, v[20:21]
	v_add_f64 v[80:81], v[74:75], -v[62:63]
	v_fma_f64 v[22:23], v[46:47], -0.5, v[22:23]
	v_add_f64 v[46:47], v[48:49], v[50:51]
	v_fma_f64 v[40:41], v[40:41], v[92:93], v[94:95]
	v_fma_f64 v[38:39], v[58:59], v[131:132], v[133:134]
	v_add_f64 v[58:59], v[28:29], v[30:31]
	v_add_f64 v[84:85], v[12:13], v[48:49]
	v_fma_f64 v[82:83], v[76:77], s[6:7], v[20:21]
	v_fma_f64 v[20:21], v[76:77], s[8:9], v[20:21]
	;; [unrolled: 1-line block ×4, first 2 shown]
	v_add_f64 v[80:81], v[26:27], v[42:43]
	v_fma_f64 v[12:13], v[46:47], -0.5, v[12:13]
	v_add_f64 v[46:47], v[54:55], -v[2:3]
	v_mul_f64 v[153:154], v[114:115], v[106:107]
	v_mul_f64 v[106:107], v[112:113], v[106:107]
	v_add_f64 v[86:87], v[14:15], v[28:29]
	v_fma_f64 v[14:15], v[58:59], -0.5, v[14:15]
	v_add_f64 v[58:59], v[40:41], -v[10:11]
	v_add_f64 v[88:89], v[8:9], v[26:27]
	v_fma_f64 v[8:9], v[80:81], -0.5, v[8:9]
	v_add_f64 v[80:81], v[44:45], -v[24:25]
	v_add_f64 v[60:61], v[60:61], v[70:71]
	v_add_f64 v[78:79], v[78:79], v[72:73]
	;; [unrolled: 1-line block ×3, first 2 shown]
	v_fma_f64 v[90:91], v[46:47], s[6:7], v[12:13]
	v_fma_f64 v[12:13], v[46:47], s[8:9], v[12:13]
	v_mov_b32_e32 v46, 0x660
	v_cndmask_b32_e64 v46, 0, v46, s[2:3]
	v_lshlrev_b32_e32 v47, 3, v129
	v_fma_f64 v[32:33], v[112:113], v[104:105], -v[153:154]
	v_fma_f64 v[36:37], v[114:115], v[104:105], v[106:107]
	v_fma_f64 v[34:35], v[118:119], v[131:132], -v[155:156]
	v_add_f64 v[86:87], v[86:87], v[30:31]
	v_fma_f64 v[92:93], v[58:59], s[6:7], v[14:15]
	v_add_f64 v[88:89], v[88:89], v[42:43]
	v_fma_f64 v[94:95], v[80:81], s[6:7], v[8:9]
	v_add3_u32 v47, 0, v46, v47
	v_fma_f64 v[14:15], v[58:59], s[8:9], v[14:15]
	v_fma_f64 v[8:9], v[80:81], s[8:9], v[8:9]
	ds_write2_b64 v47, v[60:61], v[82:83] offset1:68
	ds_write_b64 v47, v[20:21] offset:1088
	v_mov_b32_e32 v21, 3
	v_mul_u32_u24_e32 v20, 0x660, v157
	v_lshlrev_b32_sdwa v21, v21, v158 dst_sel:DWORD dst_unused:UNUSED_PAD src0_sel:DWORD src1_sel:BYTE_0
	v_add3_u32 v58, 0, v20, v21
	v_mul_u32_u24_e32 v20, 0x660, v159
	v_lshlrev_b32_e32 v21, 3, v160
	v_add3_u32 v59, 0, v20, v21
	ds_write2_b64 v58, v[78:79], v[76:77] offset1:68
	ds_write_b64 v58, v[22:23] offset:1088
	ds_write2_b64 v59, v[84:85], v[90:91] offset1:68
	ds_write_b64 v59, v[12:13] offset:1088
	v_mul_u32_u24_e32 v12, 0x660, v161
	v_lshlrev_b32_e32 v13, 3, v162
	v_add3_u32 v60, 0, v12, v13
	v_mul_u32_u24_e32 v12, 0x660, v163
	v_lshlrev_b32_e32 v13, 3, v164
	v_add3_u32 v61, 0, v12, v13
	v_lshl_add_u32 v46, v165, 3, 0
	ds_write2_b64 v60, v[86:87], v[92:93] offset1:68
	ds_write_b64 v60, v[14:15] offset:1088
	ds_write2_b64 v61, v[88:89], v[94:95] offset1:68
	ds_write_b64 v61, v[8:9] offset:1088
	s_and_saveexec_b64 s[2:3], s[0:1]
	s_cbranch_execz .LBB0_21
; %bb.20:
	v_add_f64 v[8:9], v[32:33], v[34:35]
	v_add_f64 v[12:13], v[36:37], -v[38:39]
	v_add_f64 v[14:15], v[116:117], v[32:33]
	v_fma_f64 v[8:9], v[8:9], -0.5, v[116:117]
	v_add_f64 v[14:15], v[14:15], v[34:35]
	v_fma_f64 v[20:21], v[12:13], s[6:7], v[8:9]
	v_fma_f64 v[8:9], v[12:13], s[8:9], v[8:9]
	v_add_u32_e32 v12, 0x2800, v46
	ds_write2_b64 v12, v[14:15], v[20:21] offset0:148 offset1:216
	ds_write_b64 v46, v[8:9] offset:12512
.LBB0_21:
	s_or_b64 exec, exec, s[2:3]
	v_add_f64 v[8:9], v[68:69], v[52:53]
	v_add_f64 v[12:13], v[74:75], v[62:63]
	;; [unrolled: 1-line block ×3, first 2 shown]
	v_add_f64 v[20:21], v[64:65], -v[70:71]
	v_add_f64 v[22:23], v[18:19], v[74:75]
	v_add_f64 v[64:65], v[40:41], v[10:11]
	s_waitcnt lgkmcnt(0)
	s_barrier
	v_fma_f64 v[8:9], v[8:9], -0.5, v[16:17]
	v_add_f64 v[16:17], v[66:67], -v[72:73]
	v_fma_f64 v[12:13], v[12:13], -0.5, v[18:19]
	v_add_f64 v[18:19], v[54:55], v[2:3]
	v_add_f64 v[66:67], v[44:45], v[24:25]
	;; [unrolled: 1-line block ×4, first 2 shown]
	v_fma_f64 v[6:7], v[64:65], -0.5, v[6:7]
	v_fma_f64 v[68:69], v[20:21], s[8:9], v[8:9]
	v_fma_f64 v[70:71], v[20:21], s[6:7], v[8:9]
	;; [unrolled: 1-line block ×4, first 2 shown]
	v_add_f64 v[8:9], v[4:5], v[54:55]
	v_fma_f64 v[4:5], v[18:19], -0.5, v[4:5]
	v_add_f64 v[12:13], v[48:49], -v[50:51]
	v_add_f64 v[16:17], v[28:29], -v[30:31]
	v_add_f64 v[18:19], v[0:1], v[44:45]
	v_fma_f64 v[0:1], v[66:67], -0.5, v[0:1]
	v_add_f64 v[20:21], v[26:27], -v[42:43]
	v_add_f64 v[40:41], v[8:9], v[2:3]
	v_add_f64 v[48:49], v[14:15], v[10:11]
	v_fma_f64 v[42:43], v[12:13], s[8:9], v[4:5]
	v_fma_f64 v[44:45], v[12:13], s[6:7], v[4:5]
	v_add_u32_e32 v4, 0x400, v128
	ds_read2_b64 v[28:31], v4 offset0:76 offset1:178
	v_add_u32_e32 v4, 0x800, v128
	ds_read2_b64 v[8:11], v4 offset0:152 offset1:254
	v_add_u32_e32 v4, 0x1000, v128
	v_add_f64 v[62:63], v[22:23], v[62:63]
	v_fma_f64 v[50:51], v[16:17], s[8:9], v[6:7]
	v_fma_f64 v[54:55], v[16:17], s[6:7], v[6:7]
	v_add_f64 v[64:65], v[18:19], v[24:25]
	v_fma_f64 v[66:67], v[20:21], s[8:9], v[0:1]
	v_fma_f64 v[76:77], v[20:21], s[6:7], v[0:1]
	ds_read2_b64 v[20:23], v4 offset0:100 offset1:202
	v_add_u32_e32 v4, 0x1800, v128
	v_add_u32_e32 v12, 0x1c00, v128
	;; [unrolled: 1-line block ×4, first 2 shown]
	ds_read2_b64 v[0:3], v128 offset1:102
	ds_read2_b64 v[4:7], v4 offset0:48 offset1:150
	ds_read2_b64 v[12:15], v12 offset0:124 offset1:226
	;; [unrolled: 1-line block ×4, first 2 shown]
	s_waitcnt lgkmcnt(0)
	s_barrier
	ds_write2_b64 v47, v[52:53], v[68:69] offset1:68
	ds_write_b64 v47, v[70:71] offset:1088
	ds_write2_b64 v58, v[62:63], v[72:73] offset1:68
	ds_write_b64 v58, v[74:75] offset:1088
	;; [unrolled: 2-line block ×5, first 2 shown]
	s_and_saveexec_b64 s[2:3], s[0:1]
	s_cbranch_execz .LBB0_23
; %bb.22:
	v_add_f64 v[40:41], v[36:37], v[38:39]
	v_add_f64 v[36:37], v[56:57], v[36:37]
	v_add_f64 v[32:33], v[32:33], -v[34:35]
	s_mov_b32 s1, 0xbfebb67a
	s_mov_b32 s0, 0xe8584caa
	v_fma_f64 v[34:35], v[40:41], -0.5, v[56:57]
	v_add_f64 v[36:37], v[36:37], v[38:39]
	v_fma_f64 v[38:39], v[32:33], s[0:1], v[34:35]
	s_mov_b32 s1, 0x3febb67a
	v_fma_f64 v[32:33], v[32:33], s[0:1], v[34:35]
	v_add_u32_e32 v34, 0x2800, v46
	ds_write2_b64 v34, v[36:37], v[38:39] offset0:148 offset1:216
	ds_write_b64 v46, v[32:33] offset:12512
.LBB0_23:
	s_or_b64 exec, exec, s[2:3]
	s_waitcnt lgkmcnt(0)
	s_barrier
	s_and_saveexec_b64 s[0:1], vcc
	s_cbranch_execz .LBB0_25
; %bb.24:
	v_mul_u32_u24_e32 v32, 7, v122
	v_lshlrev_b32_e32 v60, 4, v32
	global_load_dwordx4 v[32:35], v60, s[12:13] offset:3008
	global_load_dwordx4 v[36:39], v60, s[12:13] offset:3072
	;; [unrolled: 1-line block ×7, first 2 shown]
	v_mul_u32_u24_e32 v60, 7, v130
	v_lshlrev_b32_e32 v88, 4, v60
	global_load_dwordx4 v[60:63], v88, s[12:13] offset:3040
	global_load_dwordx4 v[64:67], v88, s[12:13] offset:3008
	;; [unrolled: 1-line block ×7, first 2 shown]
	v_mul_lo_u32 v129, s5, v110
	v_mad_u64_u32 v[126:127], s[0:1], s4, v110, 0
	v_add_u32_e32 v92, 0x800, v128
	v_add_u32_e32 v96, 0x2400, v128
	;; [unrolled: 1-line block ×7, first 2 shown]
	v_mul_lo_u32 v131, s4, v111
	ds_read2_b64 v[88:91], v128 offset1:102
	ds_read2_b64 v[92:95], v92 offset0:152 offset1:254
	ds_read2_b64 v[96:99], v96 offset0:72 offset1:174
	;; [unrolled: 1-line block ×7, first 2 shown]
	s_mov_b32 s2, 0x667f3bcd
	v_add3_u32 v127, v127, v131, v129
	s_mov_b32 s3, 0x3fe6a09e
	s_mov_b32 s1, 0xbfe6a09e
	;; [unrolled: 1-line block ×3, first 2 shown]
	s_waitcnt vmcnt(13) lgkmcnt(6)
	v_mul_f64 v[128:129], v[94:95], v[34:35]
	s_waitcnt vmcnt(12) lgkmcnt(5)
	v_mul_f64 v[131:132], v[98:99], v[38:39]
	s_waitcnt vmcnt(11)
	v_mul_f64 v[133:134], v[6:7], v[42:43]
	s_waitcnt vmcnt(10) lgkmcnt(3)
	v_mul_f64 v[135:136], v[106:107], v[46:47]
	s_waitcnt vmcnt(9) lgkmcnt(2)
	v_mul_f64 v[137:138], v[112:113], v[50:51]
	s_waitcnt vmcnt(8)
	v_mul_f64 v[139:140], v[22:23], v[54:55]
	s_waitcnt vmcnt(7)
	v_mul_f64 v[141:142], v[26:27], v[58:59]
	s_waitcnt lgkmcnt(1)
	v_mul_f64 v[54:55], v[116:117], v[54:55]
	s_waitcnt lgkmcnt(0)
	v_mul_f64 v[58:59], v[120:121], v[58:59]
	v_mul_f64 v[46:47], v[30:31], v[46:47]
	v_mul_f64 v[50:51], v[14:15], v[50:51]
	v_mul_f64 v[42:43], v[102:103], v[42:43]
	v_mul_f64 v[34:35], v[10:11], v[34:35]
	v_mul_f64 v[38:39], v[18:19], v[38:39]
	v_fma_f64 v[10:11], v[10:11], v[32:33], -v[128:129]
	v_fma_f64 v[18:19], v[18:19], v[36:37], -v[131:132]
	v_fma_f64 v[102:103], v[102:103], v[40:41], v[133:134]
	v_fma_f64 v[30:31], v[30:31], v[44:45], -v[135:136]
	v_fma_f64 v[14:15], v[14:15], v[48:49], -v[137:138]
	v_fma_f64 v[116:117], v[116:117], v[52:53], v[139:140]
	v_fma_f64 v[120:121], v[120:121], v[56:57], v[141:142]
	v_fma_f64 v[22:23], v[22:23], v[52:53], -v[54:55]
	v_fma_f64 v[26:27], v[26:27], v[56:57], -v[58:59]
	v_fma_f64 v[44:45], v[44:45], v[106:107], v[46:47]
	v_fma_f64 v[46:47], v[48:49], v[112:113], v[50:51]
	v_fma_f64 v[6:7], v[6:7], v[40:41], -v[42:43]
	v_fma_f64 v[32:33], v[32:33], v[94:95], v[34:35]
	v_fma_f64 v[34:35], v[36:37], v[98:99], v[38:39]
	s_waitcnt vmcnt(3)
	v_mul_f64 v[149:150], v[104:105], v[74:75]
	v_mul_f64 v[74:75], v[28:29], v[74:75]
	v_add_f64 v[18:19], v[10:11], -v[18:19]
	v_add_f64 v[40:41], v[90:91], -v[102:103]
	v_add_f64 v[14:15], v[30:31], -v[14:15]
	v_add_f64 v[42:43], v[116:117], -v[120:121]
	v_add_f64 v[26:27], v[22:23], -v[26:27]
	v_add_f64 v[46:47], v[44:45], -v[46:47]
	v_add_f64 v[6:7], v[2:3], -v[6:7]
	v_add_f64 v[34:35], v[32:33], -v[34:35]
	v_mul_f64 v[143:144], v[4:5], v[62:63]
	v_mul_f64 v[145:146], v[92:93], v[66:67]
	;; [unrolled: 1-line block ×3, first 2 shown]
	s_waitcnt vmcnt(2)
	v_mul_f64 v[151:152], v[110:111], v[78:79]
	s_waitcnt vmcnt(1)
	v_mul_f64 v[153:154], v[20:21], v[82:83]
	;; [unrolled: 2-line block ×3, first 2 shown]
	v_mul_f64 v[78:79], v[12:13], v[78:79]
	v_mul_f64 v[82:83], v[114:115], v[82:83]
	;; [unrolled: 1-line block ×3, first 2 shown]
	v_fma_f64 v[50:51], v[28:29], v[72:73], -v[149:150]
	v_fma_f64 v[52:53], v[72:73], v[104:105], v[74:75]
	v_add_f64 v[28:29], v[18:19], v[40:41]
	v_add_f64 v[56:57], v[14:15], -v[42:43]
	v_add_f64 v[58:59], v[46:47], v[26:27]
	v_add_f64 v[72:73], v[6:7], -v[34:35]
	v_fma_f64 v[36:37], v[100:101], v[60:61], v[143:144]
	v_fma_f64 v[38:39], v[8:9], v[64:65], -v[145:146]
	v_fma_f64 v[48:49], v[16:17], v[68:69], -v[147:148]
	v_fma_f64 v[54:55], v[76:77], v[110:111], v[78:79]
	v_fma_f64 v[78:79], v[2:3], 2.0, -v[6:7]
	v_fma_f64 v[2:3], v[10:11], 2.0, -v[18:19]
	;; [unrolled: 1-line block ×4, first 2 shown]
	v_fma_f64 v[42:43], v[20:21], v[80:81], -v[82:83]
	v_fma_f64 v[44:45], v[24:25], v[84:85], -v[86:87]
	v_fma_f64 v[20:21], v[58:59], s[2:3], v[28:29]
	v_fma_f64 v[24:25], v[56:57], s[2:3], v[72:73]
	v_mul_f64 v[62:63], v[100:101], v[62:63]
	v_mul_f64 v[8:9], v[8:9], v[66:67]
	;; [unrolled: 1-line block ×3, first 2 shown]
	v_fma_f64 v[74:75], v[90:91], 2.0, -v[40:41]
	v_fma_f64 v[40:41], v[40:41], 2.0, -v[28:29]
	;; [unrolled: 1-line block ×6, first 2 shown]
	v_add_f64 v[90:91], v[78:79], -v[2:3]
	v_add_f64 v[2:3], v[10:11], -v[18:19]
	v_fma_f64 v[14:15], v[14:15], 2.0, -v[56:57]
	v_fma_f64 v[6:7], v[6:7], 2.0, -v[72:73]
	v_fma_f64 v[20:21], v[56:57], s[2:3], v[20:21]
	v_fma_f64 v[18:19], v[58:59], s[0:1], v[24:25]
	v_add_f64 v[56:57], v[88:89], -v[36:37]
	v_add_f64 v[48:49], v[38:39], -v[48:49]
	v_fma_f64 v[12:13], v[12:13], v[76:77], -v[151:152]
	v_fma_f64 v[66:67], v[114:115], v[80:81], v[153:154]
	v_fma_f64 v[70:71], v[118:119], v[84:85], v[155:156]
	v_add_f64 v[54:55], v[52:53], -v[54:55]
	v_add_f64 v[44:45], v[42:43], -v[44:45]
	v_fma_f64 v[4:5], v[4:5], v[60:61], -v[62:63]
	v_fma_f64 v[60:61], v[64:65], v[92:93], v[8:9]
	v_fma_f64 v[8:9], v[68:69], v[96:97], v[16:17]
	;; [unrolled: 1-line block ×3, first 2 shown]
	v_add_f64 v[82:83], v[74:75], -v[32:33]
	v_add_f64 v[86:87], v[34:35], -v[22:23]
	v_fma_f64 v[58:59], v[14:15], s[0:1], v[6:7]
	v_fma_f64 v[26:27], v[72:73], 2.0, -v[18:19]
	v_add_f64 v[62:63], v[56:57], v[48:49]
	v_add_f64 v[64:65], v[50:51], -v[12:13]
	v_add_f64 v[68:69], v[66:67], -v[70:71]
	v_add_f64 v[70:71], v[54:55], v[44:45]
	v_add_f64 v[72:73], v[0:1], -v[4:5]
	v_add_f64 v[12:13], v[60:61], -v[8:9]
	v_fma_f64 v[4:5], v[14:15], s[2:3], v[36:37]
	v_add_f64 v[22:23], v[90:91], -v[2:3]
	v_fma_f64 v[16:17], v[74:75], 2.0, -v[82:83]
	v_fma_f64 v[10:11], v[10:11], 2.0, -v[2:3]
	v_fma_f64 v[2:3], v[46:47], s[0:1], v[58:59]
	v_fma_f64 v[14:15], v[78:79], 2.0, -v[90:91]
	v_fma_f64 v[34:35], v[34:35], 2.0, -v[86:87]
	v_add_f64 v[46:47], v[64:65], -v[68:69]
	v_fma_f64 v[36:37], v[70:71], s[2:3], v[62:63]
	v_add_f64 v[58:59], v[72:73], -v[12:13]
	v_fma_f64 v[50:51], v[50:51], 2.0, -v[64:65]
	v_fma_f64 v[42:43], v[42:43], 2.0, -v[44:45]
	;; [unrolled: 1-line block ×11, first 2 shown]
	v_add_f64 v[8:9], v[16:17], -v[10:11]
	v_fma_f64 v[10:11], v[6:7], 2.0, -v[2:3]
	v_add_f64 v[6:7], v[14:15], -v[34:35]
	v_fma_f64 v[36:37], v[46:47], s[2:3], v[36:37]
	v_fma_f64 v[34:35], v[46:47], s[2:3], v[58:59]
	v_add_f64 v[42:43], v[50:51], -v[42:43]
	v_fma_f64 v[46:47], v[64:65], 2.0, -v[46:47]
	v_fma_f64 v[64:65], v[72:73], 2.0, -v[58:59]
	v_add_f64 v[68:69], v[0:1], -v[38:39]
	v_add_f64 v[60:61], v[74:75], -v[60:61]
	;; [unrolled: 1-line block ×3, first 2 shown]
	v_fma_f64 v[56:57], v[54:55], s[0:1], v[66:67]
	v_fma_f64 v[40:41], v[62:63], 2.0, -v[36:37]
	v_fma_f64 v[50:51], v[50:51], 2.0, -v[42:43]
	v_fma_f64 v[34:35], v[70:71], s[0:1], v[34:35]
	v_fma_f64 v[62:63], v[46:47], s[0:1], v[64:65]
	v_fma_f64 v[0:1], v[0:1], 2.0, -v[68:69]
	v_fma_f64 v[70:71], v[74:75], 2.0, -v[60:61]
	;; [unrolled: 1-line block ×3, first 2 shown]
	v_add_f64 v[44:45], v[60:61], v[42:43]
	v_add_f64 v[42:43], v[68:69], -v[48:49]
	v_fma_f64 v[48:49], v[46:47], s[2:3], v[56:57]
	v_fma_f64 v[38:39], v[58:59], 2.0, -v[34:35]
	v_fma_f64 v[46:47], v[54:55], s[0:1], v[62:63]
	v_add_f64 v[54:55], v[0:1], -v[50:51]
	v_fma_f64 v[16:17], v[16:17], 2.0, -v[8:9]
	v_add_f64 v[56:57], v[70:71], -v[72:73]
	v_mad_u64_u32 v[72:73], s[0:1], s20, v130, 0
	v_fma_f64 v[52:53], v[60:61], 2.0, -v[44:45]
	v_fma_f64 v[60:61], v[66:67], 2.0, -v[48:49]
	v_mov_b32_e32 v58, v73
	v_mad_u64_u32 v[66:67], s[0:1], s21, v130, v[58:59]
	v_fma_f64 v[62:63], v[0:1], 2.0, -v[54:55]
	v_lshlrev_b64 v[0:1], 4, v[126:127]
	v_mov_b32_e32 v73, v66
	v_mov_b32_e32 v66, s11
	v_add_co_u32_e32 v67, vcc, s10, v0
	v_addc_co_u32_e32 v66, vcc, v66, v1, vcc
	v_lshlrev_b64 v[0:1], 4, v[108:109]
	v_fma_f64 v[58:59], v[64:65], 2.0, -v[46:47]
	v_fma_f64 v[64:65], v[70:71], 2.0, -v[56:57]
	v_add_co_u32_e32 v70, vcc, v67, v0
	v_addc_co_u32_e32 v71, vcc, v66, v1, vcc
	v_mad_u64_u32 v[66:67], s[0:1], s20, v125, 0
	v_fma_f64 v[50:51], v[68:69], 2.0, -v[42:43]
	v_lshlrev_b64 v[0:1], 4, v[72:73]
	v_mad_u64_u32 v[67:68], s[0:1], s21, v125, v[67:68]
	v_add_co_u32_e32 v0, vcc, v70, v0
	v_mad_u64_u32 v[68:69], s[0:1], s20, v124, 0
	v_addc_co_u32_e32 v1, vcc, v71, v1, vcc
	global_store_dwordx4 v[0:1], v[62:65], off
	v_lshlrev_b64 v[0:1], 4, v[66:67]
	v_mov_b32_e32 v62, v69
	v_add_co_u32_e32 v0, vcc, v70, v0
	v_mad_u64_u32 v[62:63], s[0:1], s21, v124, v[62:63]
	v_addc_co_u32_e32 v1, vcc, v71, v1, vcc
	global_store_dwordx4 v[0:1], v[58:61], off
	v_mov_b32_e32 v69, v62
	v_mad_u64_u32 v[58:59], s[0:1], s20, v123, 0
	v_lshlrev_b64 v[0:1], 4, v[68:69]
	v_add_u32_e32 v62, 0x330, v130
	v_mad_u64_u32 v[59:60], s[0:1], s21, v123, v[59:60]
	v_add_co_u32_e32 v0, vcc, v70, v0
	v_addc_co_u32_e32 v1, vcc, v71, v1, vcc
	v_mad_u64_u32 v[60:61], s[0:1], s20, v62, 0
	global_store_dwordx4 v[0:1], v[50:53], off
	v_lshlrev_b64 v[0:1], 4, v[58:59]
	v_mov_b32_e32 v50, v61
	v_add_co_u32_e32 v0, vcc, v70, v0
	v_addc_co_u32_e32 v1, vcc, v71, v1, vcc
	global_store_dwordx4 v[0:1], v[38:41], off
	v_mad_u64_u32 v[50:51], s[0:1], s21, v62, v[50:51]
	v_add_u32_e32 v40, 0x3fc, v130
	v_mad_u64_u32 v[38:39], s[0:1], s20, v40, 0
	v_mov_b32_e32 v61, v50
	v_add_u32_e32 v50, 0x4c8, v130
	v_mad_u64_u32 v[39:40], s[0:1], s21, v40, v[39:40]
	v_lshlrev_b64 v[0:1], 4, v[60:61]
	v_mad_u64_u32 v[40:41], s[0:1], s20, v50, 0
	v_add_co_u32_e32 v0, vcc, v70, v0
	v_addc_co_u32_e32 v1, vcc, v71, v1, vcc
	global_store_dwordx4 v[0:1], v[54:57], off
	v_lshlrev_b64 v[0:1], 4, v[38:39]
	v_mov_b32_e32 v38, v41
	v_mad_u64_u32 v[38:39], s[0:1], s21, v50, v[38:39]
	v_add_co_u32_e32 v0, vcc, v70, v0
	v_addc_co_u32_e32 v1, vcc, v71, v1, vcc
	v_mov_b32_e32 v41, v38
	global_store_dwordx4 v[0:1], v[46:49], off
	v_lshlrev_b64 v[0:1], 4, v[40:41]
	v_add_u32_e32 v40, 0x594, v130
	v_mad_u64_u32 v[38:39], s[0:1], s20, v40, 0
	v_add_co_u32_e32 v0, vcc, v70, v0
	v_addc_co_u32_e32 v1, vcc, v71, v1, vcc
	global_store_dwordx4 v[0:1], v[42:45], off
	v_mov_b32_e32 v0, v39
	v_mad_u64_u32 v[0:1], s[0:1], s21, v40, v[0:1]
	s_mov_b32 s0, 0xa0a0a0a1
	v_mul_hi_u32 v40, v122, s0
	v_mov_b32_e32 v39, v0
	s_movk_i32 s0, 0x594
	v_lshlrev_b64 v[0:1], 4, v[38:39]
	v_lshrrev_b32_e32 v38, 7, v40
	v_mad_u32_u24 v42, v38, s0, v122
	v_mad_u64_u32 v[38:39], s[0:1], s20, v42, 0
	v_fma_f64 v[14:15], v[14:15], 2.0, -v[6:7]
	v_add_co_u32_e32 v0, vcc, v70, v0
	v_mad_u64_u32 v[39:40], s[0:1], s21, v42, v[39:40]
	v_addc_co_u32_e32 v1, vcc, v71, v1, vcc
	v_add_u32_e32 v43, 0xcc, v42
	v_mad_u64_u32 v[40:41], s[0:1], s20, v43, 0
	global_store_dwordx4 v[0:1], v[34:37], off
	v_lshlrev_b64 v[0:1], 4, v[38:39]
	v_mov_b32_e32 v34, v41
	v_add_co_u32_e32 v0, vcc, v70, v0
	v_addc_co_u32_e32 v1, vcc, v71, v1, vcc
	global_store_dwordx4 v[0:1], v[14:17], off
	v_mad_u64_u32 v[34:35], s[0:1], s21, v43, v[34:35]
	v_add_u32_e32 v16, 0x198, v42
	v_mad_u64_u32 v[14:15], s[0:1], s20, v16, 0
	v_add_f64 v[24:25], v[82:83], v[86:87]
	v_mov_b32_e32 v41, v34
	v_mad_u64_u32 v[15:16], s[0:1], s21, v16, v[15:16]
	v_add_u32_e32 v34, 0x264, v42
	v_lshlrev_b64 v[0:1], 4, v[40:41]
	v_mad_u64_u32 v[16:17], s[0:1], s20, v34, 0
	v_add_co_u32_e32 v0, vcc, v70, v0
	v_addc_co_u32_e32 v1, vcc, v71, v1, vcc
	global_store_dwordx4 v[0:1], v[10:13], off
	v_fma_f64 v[32:33], v[82:83], 2.0, -v[24:25]
	v_mov_b32_e32 v10, v17
	v_fma_f64 v[30:31], v[90:91], 2.0, -v[22:23]
	v_mad_u64_u32 v[10:11], s[0:1], s21, v34, v[10:11]
	v_add_u32_e32 v12, 0x330, v42
	v_fma_f64 v[28:29], v[28:29], 2.0, -v[20:21]
	v_lshlrev_b64 v[0:1], 4, v[14:15]
	v_mov_b32_e32 v17, v10
	v_mad_u64_u32 v[10:11], s[0:1], s20, v12, 0
	v_add_co_u32_e32 v0, vcc, v70, v0
	v_addc_co_u32_e32 v1, vcc, v71, v1, vcc
	global_store_dwordx4 v[0:1], v[30:33], off
	v_lshlrev_b64 v[0:1], 4, v[16:17]
	v_mad_u64_u32 v[11:12], s[0:1], s21, v12, v[11:12]
	v_add_co_u32_e32 v0, vcc, v70, v0
	v_addc_co_u32_e32 v1, vcc, v71, v1, vcc
	v_add_u32_e32 v14, 0x3fc, v42
	v_mad_u64_u32 v[12:13], s[0:1], s20, v14, 0
	global_store_dwordx4 v[0:1], v[26:29], off
	v_lshlrev_b64 v[0:1], 4, v[10:11]
	v_mov_b32_e32 v10, v13
	v_add_co_u32_e32 v0, vcc, v70, v0
	v_addc_co_u32_e32 v1, vcc, v71, v1, vcc
	global_store_dwordx4 v[0:1], v[6:9], off
	v_mad_u64_u32 v[10:11], s[0:1], s21, v14, v[10:11]
	v_add_u32_e32 v8, 0x4c8, v42
	v_mad_u64_u32 v[6:7], s[0:1], s20, v8, 0
	v_mov_b32_e32 v13, v10
	v_add_u32_e32 v10, 0x594, v42
	v_mad_u64_u32 v[7:8], s[0:1], s21, v8, v[7:8]
	v_lshlrev_b64 v[0:1], 4, v[12:13]
	v_mad_u64_u32 v[8:9], s[0:1], s20, v10, 0
	v_add_co_u32_e32 v0, vcc, v70, v0
	v_addc_co_u32_e32 v1, vcc, v71, v1, vcc
	global_store_dwordx4 v[0:1], v[2:5], off
	v_lshlrev_b64 v[0:1], 4, v[6:7]
	v_mov_b32_e32 v2, v9
	v_mad_u64_u32 v[2:3], s[0:1], s21, v10, v[2:3]
	v_add_co_u32_e32 v0, vcc, v70, v0
	v_addc_co_u32_e32 v1, vcc, v71, v1, vcc
	v_mov_b32_e32 v9, v2
	global_store_dwordx4 v[0:1], v[22:25], off
	v_lshlrev_b64 v[0:1], 4, v[8:9]
	v_add_co_u32_e32 v0, vcc, v70, v0
	v_addc_co_u32_e32 v1, vcc, v71, v1, vcc
	global_store_dwordx4 v[0:1], v[18:21], off
.LBB0_25:
	s_endpgm
	.section	.rodata,"a",@progbits
	.p2align	6, 0x0
	.amdhsa_kernel fft_rtc_fwd_len1632_factors_17_2_2_3_8_wgs_102_tpt_102_halfLds_dp_op_CI_CI_sbrr_dirReg
		.amdhsa_group_segment_fixed_size 0
		.amdhsa_private_segment_fixed_size 0
		.amdhsa_kernarg_size 104
		.amdhsa_user_sgpr_count 6
		.amdhsa_user_sgpr_private_segment_buffer 1
		.amdhsa_user_sgpr_dispatch_ptr 0
		.amdhsa_user_sgpr_queue_ptr 0
		.amdhsa_user_sgpr_kernarg_segment_ptr 1
		.amdhsa_user_sgpr_dispatch_id 0
		.amdhsa_user_sgpr_flat_scratch_init 0
		.amdhsa_user_sgpr_private_segment_size 0
		.amdhsa_uses_dynamic_stack 0
		.amdhsa_system_sgpr_private_segment_wavefront_offset 0
		.amdhsa_system_sgpr_workgroup_id_x 1
		.amdhsa_system_sgpr_workgroup_id_y 0
		.amdhsa_system_sgpr_workgroup_id_z 0
		.amdhsa_system_sgpr_workgroup_info 0
		.amdhsa_system_vgpr_workitem_id 0
		.amdhsa_next_free_vgpr 169
		.amdhsa_next_free_sgpr 60
		.amdhsa_reserve_vcc 1
		.amdhsa_reserve_flat_scratch 0
		.amdhsa_float_round_mode_32 0
		.amdhsa_float_round_mode_16_64 0
		.amdhsa_float_denorm_mode_32 3
		.amdhsa_float_denorm_mode_16_64 3
		.amdhsa_dx10_clamp 1
		.amdhsa_ieee_mode 1
		.amdhsa_fp16_overflow 0
		.amdhsa_exception_fp_ieee_invalid_op 0
		.amdhsa_exception_fp_denorm_src 0
		.amdhsa_exception_fp_ieee_div_zero 0
		.amdhsa_exception_fp_ieee_overflow 0
		.amdhsa_exception_fp_ieee_underflow 0
		.amdhsa_exception_fp_ieee_inexact 0
		.amdhsa_exception_int_div_zero 0
	.end_amdhsa_kernel
	.text
.Lfunc_end0:
	.size	fft_rtc_fwd_len1632_factors_17_2_2_3_8_wgs_102_tpt_102_halfLds_dp_op_CI_CI_sbrr_dirReg, .Lfunc_end0-fft_rtc_fwd_len1632_factors_17_2_2_3_8_wgs_102_tpt_102_halfLds_dp_op_CI_CI_sbrr_dirReg
                                        ; -- End function
	.section	.AMDGPU.csdata,"",@progbits
; Kernel info:
; codeLenInByte = 16260
; NumSgprs: 64
; NumVgprs: 169
; ScratchSize: 0
; MemoryBound: 1
; FloatMode: 240
; IeeeMode: 1
; LDSByteSize: 0 bytes/workgroup (compile time only)
; SGPRBlocks: 7
; VGPRBlocks: 42
; NumSGPRsForWavesPerEU: 64
; NumVGPRsForWavesPerEU: 169
; Occupancy: 1
; WaveLimiterHint : 1
; COMPUTE_PGM_RSRC2:SCRATCH_EN: 0
; COMPUTE_PGM_RSRC2:USER_SGPR: 6
; COMPUTE_PGM_RSRC2:TRAP_HANDLER: 0
; COMPUTE_PGM_RSRC2:TGID_X_EN: 1
; COMPUTE_PGM_RSRC2:TGID_Y_EN: 0
; COMPUTE_PGM_RSRC2:TGID_Z_EN: 0
; COMPUTE_PGM_RSRC2:TIDIG_COMP_CNT: 0
	.type	__hip_cuid_a76b6c57b219e018,@object ; @__hip_cuid_a76b6c57b219e018
	.section	.bss,"aw",@nobits
	.globl	__hip_cuid_a76b6c57b219e018
__hip_cuid_a76b6c57b219e018:
	.byte	0                               ; 0x0
	.size	__hip_cuid_a76b6c57b219e018, 1

	.ident	"AMD clang version 19.0.0git (https://github.com/RadeonOpenCompute/llvm-project roc-6.4.0 25133 c7fe45cf4b819c5991fe208aaa96edf142730f1d)"
	.section	".note.GNU-stack","",@progbits
	.addrsig
	.addrsig_sym __hip_cuid_a76b6c57b219e018
	.amdgpu_metadata
---
amdhsa.kernels:
  - .args:
      - .actual_access:  read_only
        .address_space:  global
        .offset:         0
        .size:           8
        .value_kind:     global_buffer
      - .offset:         8
        .size:           8
        .value_kind:     by_value
      - .actual_access:  read_only
        .address_space:  global
        .offset:         16
        .size:           8
        .value_kind:     global_buffer
      - .actual_access:  read_only
        .address_space:  global
        .offset:         24
        .size:           8
        .value_kind:     global_buffer
      - .actual_access:  read_only
        .address_space:  global
        .offset:         32
        .size:           8
        .value_kind:     global_buffer
      - .offset:         40
        .size:           8
        .value_kind:     by_value
      - .actual_access:  read_only
        .address_space:  global
        .offset:         48
        .size:           8
        .value_kind:     global_buffer
      - .actual_access:  read_only
        .address_space:  global
        .offset:         56
        .size:           8
        .value_kind:     global_buffer
      - .offset:         64
        .size:           4
        .value_kind:     by_value
      - .actual_access:  read_only
        .address_space:  global
        .offset:         72
        .size:           8
        .value_kind:     global_buffer
      - .actual_access:  read_only
        .address_space:  global
        .offset:         80
        .size:           8
        .value_kind:     global_buffer
      - .actual_access:  read_only
        .address_space:  global
        .offset:         88
        .size:           8
        .value_kind:     global_buffer
      - .actual_access:  write_only
        .address_space:  global
        .offset:         96
        .size:           8
        .value_kind:     global_buffer
    .group_segment_fixed_size: 0
    .kernarg_segment_align: 8
    .kernarg_segment_size: 104
    .language:       OpenCL C
    .language_version:
      - 2
      - 0
    .max_flat_workgroup_size: 102
    .name:           fft_rtc_fwd_len1632_factors_17_2_2_3_8_wgs_102_tpt_102_halfLds_dp_op_CI_CI_sbrr_dirReg
    .private_segment_fixed_size: 0
    .sgpr_count:     64
    .sgpr_spill_count: 0
    .symbol:         fft_rtc_fwd_len1632_factors_17_2_2_3_8_wgs_102_tpt_102_halfLds_dp_op_CI_CI_sbrr_dirReg.kd
    .uniform_work_group_size: 1
    .uses_dynamic_stack: false
    .vgpr_count:     169
    .vgpr_spill_count: 0
    .wavefront_size: 64
amdhsa.target:   amdgcn-amd-amdhsa--gfx906
amdhsa.version:
  - 1
  - 2
...

	.end_amdgpu_metadata
